;; amdgpu-corpus repo=ROCm/rocFFT kind=compiled arch=gfx1030 opt=O3
	.text
	.amdgcn_target "amdgcn-amd-amdhsa--gfx1030"
	.amdhsa_code_object_version 6
	.protected	bluestein_single_fwd_len624_dim1_sp_op_CI_CI ; -- Begin function bluestein_single_fwd_len624_dim1_sp_op_CI_CI
	.globl	bluestein_single_fwd_len624_dim1_sp_op_CI_CI
	.p2align	8
	.type	bluestein_single_fwd_len624_dim1_sp_op_CI_CI,@function
bluestein_single_fwd_len624_dim1_sp_op_CI_CI: ; @bluestein_single_fwd_len624_dim1_sp_op_CI_CI
; %bb.0:
	s_load_dwordx4 s[0:3], s[4:5], 0x28
	v_mul_u32_u24_e32 v1, 0x4ed, v0
	v_mov_b32_e32 v45, 0
	v_lshrrev_b32_e32 v1, 16, v1
	v_add_nc_u32_e32 v44, s6, v1
	s_waitcnt lgkmcnt(0)
	v_cmp_gt_u64_e32 vcc_lo, s[0:1], v[44:45]
	s_and_saveexec_b32 s0, vcc_lo
	s_cbranch_execz .LBB0_15
; %bb.1:
	v_mul_lo_u16 v1, v1, 52
	s_clause 0x1
	s_load_dwordx2 s[14:15], s[4:5], 0x0
	s_load_dwordx2 s[12:13], s[4:5], 0x38
	v_sub_nc_u16 v0, v0, v1
	v_and_b32_e32 v76, 0xffff, v0
	v_cmp_gt_u16_e32 vcc_lo, 48, v0
	v_lshlrev_b32_e32 v77, 3, v76
	v_or_b32_e32 v75, 0xc0, v76
	v_or_b32_e32 v74, 0x180, v76
	;; [unrolled: 1-line block ×3, first 2 shown]
	s_and_saveexec_b32 s1, vcc_lo
	s_cbranch_execz .LBB0_3
; %bb.2:
	s_load_dwordx2 s[6:7], s[4:5], 0x18
	v_lshlrev_b32_e32 v12, 3, v74
	v_lshlrev_b32_e32 v24, 3, v73
	s_waitcnt lgkmcnt(0)
	v_add_co_u32 v40, s0, s14, v77
	v_add_co_ci_u32_e64 v41, null, s15, 0, s0
	v_add_nc_u32_e32 v57, 0x800, v77
	v_add_nc_u32_e32 v58, 0xc00, v77
	s_load_dwordx4 s[8:11], s[6:7], 0x0
	s_clause 0x7
	global_load_dwordx2 v[0:1], v77, s[14:15]
	global_load_dwordx2 v[2:3], v77, s[14:15] offset:384
	global_load_dwordx2 v[4:5], v77, s[14:15] offset:768
	global_load_dwordx2 v[6:7], v77, s[14:15] offset:1152
	global_load_dwordx2 v[8:9], v77, s[14:15] offset:1536
	global_load_dwordx2 v[10:11], v77, s[14:15] offset:1920
	global_load_dwordx2 v[12:13], v12, s[14:15]
	global_load_dwordx2 v[24:25], v24, s[14:15]
	s_waitcnt lgkmcnt(0)
	v_mad_u64_u32 v[14:15], null, s10, v44, 0
	v_mad_u64_u32 v[16:17], null, s8, v76, 0
	;; [unrolled: 1-line block ×9, first 2 shown]
	v_mov_b32_e32 v15, v26
	s_mul_i32 s0, s9, 0x180
	v_mov_b32_e32 v17, v27
	s_mul_hi_u32 s6, s8, 0x180
	v_mov_b32_e32 v19, v28
	v_lshlrev_b64 v[14:15], 3, v[14:15]
	s_add_i32 s6, s6, s0
	v_lshlrev_b64 v[16:17], 3, v[16:17]
	v_mov_b32_e32 v21, v29
	s_mul_i32 s7, s8, 0x180
	v_add_co_u32 v32, s0, s2, v14
	v_add_co_ci_u32_e64 v33, s0, s3, v15, s0
	v_lshlrev_b64 v[14:15], 3, v[18:19]
	v_add_co_u32 v16, s0, v32, v16
	v_add_co_ci_u32_e64 v17, s0, v33, v17, s0
	v_lshlrev_b64 v[18:19], 3, v[20:21]
	v_add_co_u32 v20, s0, v16, s7
	v_add_co_ci_u32_e64 v21, s0, s6, v17, s0
	v_add_co_u32 v26, s0, v20, s7
	v_add_co_ci_u32_e64 v27, s0, s6, v21, s0
	;; [unrolled: 2-line block ×5, first 2 shown]
	s_clause 0x3
	global_load_dwordx2 v[16:17], v[16:17], off
	global_load_dwordx2 v[14:15], v[14:15], off
	;; [unrolled: 1-line block ×4, first 2 shown]
	s_waitcnt vmcnt(4)
	v_mad_u64_u32 v[30:31], null, s9, v73, v[23:24]
	s_mulk_i32 s9, 0x300
	v_mov_b32_e32 v23, v30
	v_mad_u64_u32 v[30:31], null, 0x300, s8, v[28:29]
	v_lshlrev_b64 v[22:23], 3, v[22:23]
	v_add_nc_u32_e32 v31, s9, v31
	v_add_co_u32 v22, s0, v32, v22
	v_add_co_ci_u32_e64 v23, s0, v33, v23, s0
	v_add_co_u32 v32, s0, v30, s7
	v_add_co_ci_u32_e64 v33, s0, s6, v31, s0
	global_load_dwordx2 v[22:23], v[22:23], off
	v_add_co_u32 v34, s0, v32, s7
	v_add_co_ci_u32_e64 v35, s0, s6, v33, s0
	v_add_co_u32 v36, s0, 0x800, v40
	s_clause 0x1
	global_load_dwordx2 v[26:27], v[26:27], off
	global_load_dwordx2 v[28:29], v[28:29], off
	v_mad_u64_u32 v[38:39], null, 0x300, s8, v[34:35]
	v_add_co_ci_u32_e64 v37, s0, 0, v41, s0
	v_add_co_u32 v40, s0, 0x1000, v40
	v_add_co_ci_u32_e64 v41, s0, 0, v41, s0
	v_add_nc_u32_e32 v39, s9, v39
	v_add_co_u32 v49, s0, v38, s7
	global_load_dwordx2 v[30:31], v[30:31], off
	s_clause 0x2
	global_load_dwordx2 v[42:43], v[36:37], off offset:256
	global_load_dwordx2 v[45:46], v[36:37], off offset:640
	;; [unrolled: 1-line block ×3, first 2 shown]
	global_load_dwordx2 v[32:33], v[32:33], off
	global_load_dwordx2 v[34:35], v[34:35], off
	v_add_co_ci_u32_e64 v50, s0, s6, v39, s0
	v_add_co_u32 v51, s0, v49, s7
	global_load_dwordx2 v[38:39], v[38:39], off
	v_add_co_ci_u32_e64 v52, s0, s6, v50, s0
	global_load_dwordx2 v[36:37], v[36:37], off offset:1792
	global_load_dwordx2 v[49:50], v[49:50], off
	global_load_dwordx2 v[40:41], v[40:41], off offset:128
	global_load_dwordx2 v[51:52], v[51:52], off
	s_waitcnt vmcnt(17)
	v_mul_f32_e32 v53, v17, v1
	v_mul_f32_e32 v54, v16, v1
	s_waitcnt vmcnt(16)
	v_mul_f32_e32 v56, v14, v9
	v_mul_f32_e32 v55, v15, v9
	s_waitcnt vmcnt(15)
	v_mul_f32_e32 v9, v18, v13
	v_fmac_f32_e32 v53, v16, v0
	v_fma_f32 v54, v17, v0, -v54
	v_fma_f32 v56, v15, v8, -v56
	v_fmac_f32_e32 v55, v14, v8
	v_mul_f32_e32 v13, v19, v13
	v_fma_f32 v14, v19, v12, -v9
	s_waitcnt vmcnt(14)
	v_mul_f32_e32 v0, v20, v3
	v_mul_f32_e32 v15, v21, v3
	v_fmac_f32_e32 v13, v18, v12
	v_fma_f32 v16, v21, v2, -v0
	v_fmac_f32_e32 v15, v20, v2
	ds_write2_b64 v77, v[53:54], v[15:16] offset1:48
	s_waitcnt vmcnt(13)
	v_mul_f32_e32 v1, v23, v25
	v_mul_f32_e32 v25, v22, v25
	v_fmac_f32_e32 v1, v22, v24
	s_waitcnt vmcnt(12)
	v_mul_f32_e32 v3, v27, v5
	v_mul_f32_e32 v0, v26, v5
	s_waitcnt vmcnt(11)
	v_mul_f32_e32 v5, v29, v7
	v_mul_f32_e32 v8, v28, v7
	v_fma_f32 v2, v23, v24, -v25
	v_fmac_f32_e32 v3, v26, v4
	v_fma_f32 v4, v27, v4, -v0
	v_fmac_f32_e32 v5, v28, v6
	v_fma_f32 v6, v29, v6, -v8
	s_waitcnt vmcnt(10)
	v_mul_f32_e32 v0, v30, v11
	v_mul_f32_e32 v7, v31, v11
	s_waitcnt vmcnt(6)
	v_mul_f32_e32 v9, v33, v43
	v_fma_f32 v8, v31, v10, -v0
	v_mul_f32_e32 v0, v32, v43
	s_waitcnt vmcnt(5)
	v_mul_f32_e32 v11, v35, v46
	v_mul_f32_e32 v12, v34, v46
	v_fmac_f32_e32 v7, v30, v10
	s_waitcnt vmcnt(4)
	v_mul_f32_e32 v15, v39, v48
	v_fma_f32 v10, v33, v42, -v0
	v_mul_f32_e32 v0, v38, v48
	s_waitcnt vmcnt(2)
	v_mul_f32_e32 v17, v50, v37
	v_mul_f32_e32 v18, v49, v37
	s_waitcnt vmcnt(0)
	v_mul_f32_e32 v19, v52, v41
	v_mul_f32_e32 v20, v51, v41
	v_fmac_f32_e32 v9, v32, v42
	v_fmac_f32_e32 v11, v34, v45
	v_fma_f32 v12, v35, v45, -v12
	v_fmac_f32_e32 v15, v38, v47
	v_fma_f32 v16, v39, v47, -v0
	v_fmac_f32_e32 v17, v49, v36
	v_fma_f32 v18, v50, v36, -v18
	v_fmac_f32_e32 v19, v51, v40
	v_fma_f32 v20, v52, v40, -v20
	ds_write2_b64 v77, v[3:4], v[5:6] offset0:96 offset1:144
	ds_write2_b64 v77, v[55:56], v[7:8] offset0:192 offset1:240
	;; [unrolled: 1-line block ×5, first 2 shown]
	ds_write_b64 v77, v[1:2] offset:4608
.LBB0_3:
	s_or_b32 exec_lo, exec_lo, s1
	s_load_dwordx2 s[0:1], s[4:5], 0x20
	v_mov_b32_e32 v0, 0
	v_mov_b32_e32 v1, 0
                                        ; kill: def $vgpr2 killed $sgpr0 killed $exec
	s_waitcnt lgkmcnt(0)
	s_barrier
	buffer_gl0_inv
                                        ; implicit-def: $vgpr14
                                        ; implicit-def: $vgpr6
                                        ; implicit-def: $vgpr24
                                        ; implicit-def: $vgpr10
                                        ; implicit-def: $vgpr18
                                        ; implicit-def: $vgpr22
	s_and_saveexec_b32 s2, vcc_lo
	s_cbranch_execz .LBB0_5
; %bb.4:
	v_add_nc_u32_e32 v4, 0x800, v77
	v_add_nc_u32_e32 v5, 0xc00, v77
	ds_read2_b64 v[0:3], v77 offset1:48
	ds_read2_b64 v[20:23], v77 offset0:96 offset1:144
	ds_read2_b64 v[16:19], v77 offset0:192 offset1:240
	;; [unrolled: 1-line block ×5, first 2 shown]
	ds_read_b64 v[24:25], v77 offset:4608
.LBB0_5:
	s_or_b32 exec_lo, exec_lo, s2
	s_waitcnt lgkmcnt(0)
	v_sub_f32_e32 v52, v3, v25
	v_sub_f32_e32 v56, v2, v24
	v_add_f32_e32 v26, v24, v2
	v_add_f32_e32 v29, v25, v3
	v_sub_f32_e32 v53, v21, v7
	v_mul_f32_e32 v38, 0xbeedf032, v52
	v_mul_f32_e32 v42, 0xbeedf032, v56
	v_add_f32_e32 v27, v6, v20
	v_sub_f32_e32 v59, v20, v6
	v_mul_f32_e32 v39, 0xbf52af12, v53
	v_fmamk_f32 v30, v26, 0x3f62ad3f, v38
	v_fma_f32 v31, 0x3f62ad3f, v29, -v42
	v_add_f32_e32 v28, v7, v21
	v_mul_f32_e32 v43, 0xbf52af12, v59
	v_sub_f32_e32 v55, v23, v5
	v_add_f32_e32 v32, v30, v0
	v_add_f32_e32 v33, v31, v1
	v_fmamk_f32 v31, v27, 0x3f116cb1, v39
	v_sub_f32_e32 v60, v22, v4
	v_fma_f32 v34, 0x3f116cb1, v28, -v43
	v_add_f32_e32 v30, v4, v22
	v_mul_f32_e32 v40, 0xbf7e222b, v55
	v_add_f32_e32 v35, v31, v32
	v_add_f32_e32 v31, v5, v23
	v_mul_f32_e32 v48, 0xbf7e222b, v60
	v_sub_f32_e32 v58, v17, v11
	v_sub_f32_e32 v61, v16, v10
	v_add_f32_e32 v34, v34, v33
	v_fmamk_f32 v36, v30, 0x3df6dbef, v40
	v_fma_f32 v37, 0x3df6dbef, v31, -v48
	v_add_f32_e32 v32, v10, v16
	v_add_f32_e32 v33, v11, v17
	v_mul_f32_e32 v41, 0xbf6f5d39, v58
	v_mul_f32_e32 v49, 0xbf6f5d39, v61
	v_sub_f32_e32 v57, v19, v9
	v_sub_f32_e32 v63, v18, v8
	v_add_f32_e32 v36, v36, v35
	v_add_f32_e32 v37, v37, v34
	v_fmamk_f32 v45, v32, 0xbeb58ec6, v41
	v_fma_f32 v46, 0xbeb58ec6, v33, -v49
	v_add_f32_e32 v34, v8, v18
	v_mul_f32_e32 v47, 0xbf29c268, v57
	v_add_f32_e32 v35, v9, v19
	v_mul_f32_e32 v51, 0xbf29c268, v63
	v_sub_f32_e32 v62, v13, v15
	v_sub_f32_e32 v64, v12, v14
	s_load_dwordx2 s[2:3], s[4:5], 0x8
	v_add_f32_e32 v45, v45, v36
	v_add_f32_e32 v46, v46, v37
	v_fmamk_f32 v65, v34, 0xbf3f9e67, v47
	v_fma_f32 v66, 0xbf3f9e67, v35, -v51
	v_add_f32_e32 v36, v14, v12
	v_mul_f32_e32 v50, 0xbe750f2a, v62
	v_add_f32_e32 v37, v15, v13
	v_mul_f32_e32 v54, 0xbe750f2a, v64
	v_add_f32_e32 v45, v65, v45
	v_add_f32_e32 v46, v66, v46
	v_fmamk_f32 v65, v36, 0xbf788fa5, v50
	v_mul_lo_u16 v78, v76, 13
	v_fma_f32 v66, 0xbf788fa5, v37, -v54
	s_waitcnt lgkmcnt(0)
	s_barrier
	v_add_f32_e32 v45, v65, v45
	buffer_gl0_inv
	v_add_f32_e32 v46, v66, v46
	s_and_saveexec_b32 s4, vcc_lo
	s_cbranch_execz .LBB0_7
; %bb.6:
	v_mul_f32_e32 v69, 0x3df6dbef, v29
	v_add_f32_e32 v3, v3, v1
	v_add_f32_e32 v2, v2, v0
	v_mul_f32_e32 v71, 0xbf7e222b, v52
	v_mul_f32_e32 v68, 0xbf788fa5, v28
	v_fmamk_f32 v70, v56, 0x3f7e222b, v69
	v_mul_f32_e32 v79, 0xbe750f2a, v53
	v_add_f32_e32 v3, v21, v3
	v_add_f32_e32 v2, v20, v2
	v_fmamk_f32 v20, v26, 0x3df6dbef, v71
	v_mul_f32_e32 v67, 0xbeb58ec6, v31
	v_fmamk_f32 v72, v59, 0x3e750f2a, v68
	v_add_f32_e32 v70, v70, v1
	v_mul_f32_e32 v80, 0x3f6f5d39, v55
	v_fmamk_f32 v81, v27, 0xbf788fa5, v79
	v_add_f32_e32 v20, v20, v0
	v_add_f32_e32 v3, v23, v3
	v_add_f32_e32 v2, v22, v2
	v_mul_f32_e32 v66, 0x3f62ad3f, v33
	v_fmamk_f32 v21, v60, 0xbf6f5d39, v67
	v_add_f32_e32 v70, v72, v70
	v_fmamk_f32 v82, v30, 0xbeb58ec6, v80
	v_add_f32_e32 v20, v81, v20
	v_mul_f32_e32 v22, 0x3eedf032, v58
	v_add_f32_e32 v3, v17, v3
	v_add_f32_e32 v2, v16, v2
	v_mul_f32_e32 v65, 0x3f116cb1, v35
	v_fmamk_f32 v72, v61, 0xbeedf032, v66
	v_add_f32_e32 v21, v21, v70
	v_add_f32_e32 v16, v82, v20
	v_fmamk_f32 v20, v32, 0x3f62ad3f, v22
	v_add_f32_e32 v3, v19, v3
	v_add_f32_e32 v2, v18, v2
	v_mul_f32_e32 v19, 0xbeb58ec6, v29
	v_fmamk_f32 v70, v63, 0x3f52af12, v65
	v_add_f32_e32 v21, v72, v21
	v_add_f32_e32 v16, v20, v16
	;; [unrolled: 1-line block ×4, first 2 shown]
	v_fmamk_f32 v13, v56, 0x3f6f5d39, v19
	v_mul_f32_e32 v20, 0xbf3f9e67, v28
	v_mul_f32_e32 v72, 0xbf6f5d39, v52
	v_add_f32_e32 v17, v70, v21
	v_mul_f32_e32 v21, 0xbf3f9e67, v37
	v_mul_f32_e32 v18, 0xbf52af12, v57
	v_add_f32_e32 v15, v15, v3
	v_add_f32_e32 v14, v14, v2
	;; [unrolled: 1-line block ×3, first 2 shown]
	v_fmamk_f32 v3, v59, 0xbf29c268, v20
	v_mul_f32_e32 v70, 0x3f62ad3f, v31
	v_fmamk_f32 v81, v26, 0xbeb58ec6, v72
	v_mul_f32_e32 v82, 0x3f29c268, v53
	;; [unrolled: 2-line block ×3, first 2 shown]
	v_fmamk_f32 v13, v64, 0x3f29c268, v21
	v_add_f32_e32 v2, v3, v2
	v_fmamk_f32 v3, v60, 0xbeedf032, v70
	v_add_f32_e32 v81, v81, v0
	v_fmamk_f32 v86, v27, 0xbf3f9e67, v82
	v_mul_f32_e32 v87, 0x3eedf032, v55
	v_add_f32_e32 v12, v12, v16
	v_mul_f32_e32 v16, 0x3df6dbef, v33
	v_fmamk_f32 v83, v36, 0xbf3f9e67, v23
	v_add_f32_e32 v84, v3, v2
	v_add_f32_e32 v3, v13, v17
	;; [unrolled: 1-line block ×3, first 2 shown]
	v_fmamk_f32 v17, v30, 0x3f62ad3f, v87
	v_mul_f32_e32 v81, 0xbf7e222b, v58
	v_fmamk_f32 v85, v61, 0x3f7e222b, v16
	v_add_f32_e32 v2, v83, v12
	v_add_f32_e32 v9, v9, v15
	;; [unrolled: 1-line block ×3, first 2 shown]
	v_mul_f32_e32 v83, 0xbf788fa5, v35
	v_add_f32_e32 v13, v17, v13
	v_fmamk_f32 v14, v32, 0x3df6dbef, v81
	v_mul_f32_e32 v17, 0x3e750f2a, v57
	v_add_f32_e32 v12, v85, v84
	v_add_f32_e32 v84, v11, v9
	v_fmamk_f32 v9, v63, 0xbe750f2a, v83
	v_mul_f32_e32 v15, 0xbf3f9e67, v29
	v_add_f32_e32 v11, v14, v13
	v_fmamk_f32 v13, v34, 0xbf788fa5, v17
	v_add_f32_e32 v85, v10, v8
	v_add_f32_e32 v8, v9, v12
	v_fmamk_f32 v9, v56, 0x3f29c268, v15
	v_mul_f32_e32 v12, 0x3df6dbef, v28
	v_add_f32_e32 v10, v13, v11
	v_mul_f32_e32 v13, 0xbf29c268, v52
	v_mul_f32_e32 v86, 0x3f116cb1, v37
	v_add_f32_e32 v9, v9, v1
	v_fmamk_f32 v11, v59, 0xbf7e222b, v12
	v_mul_f32_e32 v14, 0x3f116cb1, v31
	v_fmamk_f32 v89, v26, 0xbf3f9e67, v13
	v_mul_f32_e32 v90, 0x3f7e222b, v53
	v_fmamk_f32 v88, v64, 0xbf52af12, v86
	v_add_f32_e32 v11, v11, v9
	v_fmamk_f32 v91, v60, 0x3f52af12, v14
	v_mul_f32_e32 v92, 0xbf788fa5, v33
	v_add_f32_e32 v89, v89, v0
	v_fmamk_f32 v93, v27, 0x3df6dbef, v90
	v_mul_f32_e32 v94, 0xbf52af12, v55
	v_add_f32_e32 v9, v88, v8
	v_add_f32_e32 v8, v91, v11
	v_fmamk_f32 v11, v61, 0xbe750f2a, v92
	v_add_f32_e32 v88, v93, v89
	v_fmamk_f32 v89, v30, 0x3f116cb1, v94
	v_mul_f32_e32 v91, 0x3e750f2a, v58
	v_mul_f32_e32 v95, 0x3f62ad3f, v35
	;; [unrolled: 1-line block ×3, first 2 shown]
	v_add_f32_e32 v8, v11, v8
	v_add_f32_e32 v11, v89, v88
	v_fmamk_f32 v88, v32, 0xbf788fa5, v91
	v_mul_f32_e32 v89, 0x3eedf032, v57
	v_fmamk_f32 v96, v63, 0xbeedf032, v95
	v_mul_f32_e32 v97, 0xbeb58ec6, v37
	v_fmamk_f32 v98, v36, 0x3f116cb1, v93
	v_add_f32_e32 v11, v88, v11
	v_fmamk_f32 v88, v34, 0x3f62ad3f, v89
	v_add_f32_e32 v96, v96, v8
	v_fmamk_f32 v99, v64, 0x3f6f5d39, v97
	v_mul_f32_e32 v100, 0xbe750f2a, v56
	v_add_f32_e32 v8, v98, v10
	v_add_f32_e32 v10, v88, v11
	v_mul_f32_e32 v98, 0x3eedf032, v59
	v_add_f32_e32 v11, v99, v96
	v_fmamk_f32 v96, v29, 0xbf788fa5, v100
	v_mul_f32_e32 v104, 0xbf29c268, v60
	v_mul_f32_e32 v107, 0x3f52af12, v61
	v_fmamk_f32 v103, v28, 0x3f62ad3f, v98
	v_mul_f32_e32 v109, 0xbf6f5d39, v63
	v_add_f32_e32 v96, v96, v1
	v_fmac_f32_e32 v15, 0xbf29c268, v56
	v_fma_f32 v13, 0xbf3f9e67, v26, -v13
	v_fmac_f32_e32 v12, 0x3f7e222b, v59
	v_fma_f32 v90, 0x3df6dbef, v27, -v90
	v_add_f32_e32 v96, v103, v96
	v_fmamk_f32 v103, v31, 0xbf3f9e67, v104
	v_add_f32_e32 v15, v15, v1
	v_add_f32_e32 v13, v13, v0
	v_fma_f32 v94, 0x3f116cb1, v30, -v94
	v_fmac_f32_e32 v14, 0xbf52af12, v60
	v_add_f32_e32 v96, v103, v96
	v_fmamk_f32 v103, v33, 0x3f116cb1, v107
	v_add_f32_e32 v12, v12, v15
	v_add_f32_e32 v90, v90, v13
	v_fmac_f32_e32 v19, 0xbf6f5d39, v56
	v_fmac_f32_e32 v92, 0x3e750f2a, v61
	v_add_f32_e32 v96, v103, v96
	v_fmamk_f32 v103, v35, 0xbeb58ec6, v109
	v_add_f32_e32 v14, v14, v12
	v_fma_f32 v89, 0x3f62ad3f, v34, -v89
	v_fma_f32 v72, 0xbeb58ec6, v26, -v72
	v_add_f32_e32 v19, v19, v1
	v_add_f32_e32 v96, v103, v96
	v_mul_f32_e32 v103, 0x3f7e222b, v64
	v_fmac_f32_e32 v20, 0x3f29c268, v59
	v_mul_f32_e32 v99, 0xbf6f5d39, v62
	v_add_f32_e32 v14, v92, v14
	v_fmac_f32_e32 v95, 0x3eedf032, v63
	v_fmamk_f32 v15, v37, 0x3df6dbef, v103
	v_add_f32_e32 v19, v20, v19
	v_fmac_f32_e32 v70, 0x3eedf032, v60
	v_fmac_f32_e32 v97, 0xbf6f5d39, v64
	v_add_f32_e32 v14, v95, v14
	v_add_f32_e32 v13, v15, v96
	v_add_f32_e32 v15, v94, v90
	v_fma_f32 v90, 0xbf788fa5, v32, -v91
	v_fma_f32 v20, 0xbeb58ec6, v36, -v99
	v_add_f32_e32 v19, v70, v19
	v_fmac_f32_e32 v16, 0xbf7e222b, v61
	v_fma_f32 v70, 0x3df6dbef, v32, -v81
	v_add_f32_e32 v15, v90, v15
	v_fmac_f32_e32 v69, 0xbf7e222b, v56
	v_fmac_f32_e32 v68, 0xbe750f2a, v59
	v_add_f32_e32 v16, v16, v19
	v_fma_f32 v19, 0x3df6dbef, v26, -v71
	v_add_f32_e32 v89, v89, v15
	v_add_f32_e32 v15, v72, v0
	v_fma_f32 v72, 0xbf3f9e67, v27, -v82
	v_fma_f32 v82, 0x3f62ad3f, v30, -v87
	v_add_f32_e32 v69, v69, v1
	v_fma_f32 v17, 0xbf788fa5, v34, -v17
	v_add_f32_e32 v19, v19, v0
	v_add_f32_e32 v72, v72, v15
	v_add_f32_e32 v15, v97, v14
	v_add_f32_e32 v14, v20, v89
	v_add_f32_e32 v68, v68, v69
	v_fmac_f32_e32 v67, 0x3f6f5d39, v60
	v_add_f32_e32 v20, v82, v72
	v_fmac_f32_e32 v83, 0x3e750f2a, v63
	v_fmac_f32_e32 v66, 0x3eedf032, v61
	v_fma_f32 v22, 0x3f62ad3f, v32, -v22
	v_add_f32_e32 v67, v67, v68
	v_add_f32_e32 v20, v70, v20
	v_fma_f32 v70, 0xbf788fa5, v27, -v79
	v_mul_f32_e32 v56, 0xbf52af12, v56
	v_mul_f32_e32 v88, 0xbe750f2a, v52
	v_add_f32_e32 v16, v83, v16
	v_add_f32_e32 v20, v17, v20
	;; [unrolled: 1-line block ×3, first 2 shown]
	v_fma_f32 v19, 0xbeb58ec6, v30, -v80
	v_fmac_f32_e32 v86, 0x3f52af12, v64
	v_fma_f32 v68, 0x3f116cb1, v36, -v93
	v_add_f32_e32 v66, v66, v67
	v_fmac_f32_e32 v65, 0xbf52af12, v63
	v_add_f32_e32 v19, v19, v17
	v_fma_f32 v18, 0x3f116cb1, v34, -v18
	v_mul_f32_e32 v59, 0xbf6f5d39, v59
	v_mul_f32_e32 v52, 0xbf52af12, v52
	;; [unrolled: 1-line block ×3, first 2 shown]
	v_add_f32_e32 v19, v22, v19
	v_fmamk_f32 v22, v29, 0x3f116cb1, v56
	v_add_f32_e32 v17, v86, v16
	v_add_f32_e32 v16, v68, v20
	;; [unrolled: 1-line block ×5, first 2 shown]
	v_fmamk_f32 v22, v28, 0xbeb58ec6, v59
	v_mul_f32_e32 v60, 0xbe750f2a, v60
	v_fma_f32 v65, 0x3f116cb1, v26, -v52
	v_mul_f32_e32 v53, 0xbf6f5d39, v53
	v_fma_f32 v101, 0xbf788fa5, v26, -v88
	v_mul_f32_e32 v106, 0xbf29c268, v55
	v_fmac_f32_e32 v21, 0xbf29c268, v64
	v_add_f32_e32 v22, v22, v19
	v_fmamk_f32 v66, v31, 0xbf788fa5, v60
	v_add_f32_e32 v65, v65, v0
	v_fma_f32 v67, 0xbeb58ec6, v27, -v53
	v_mul_f32_e32 v55, 0xbe750f2a, v55
	v_add_f32_e32 v101, v101, v0
	v_fma_f32 v105, 0x3f62ad3f, v27, -v102
	v_mul_f32_e32 v108, 0x3f52af12, v58
	v_fma_f32 v23, 0xbf3f9e67, v36, -v23
	v_add_f32_e32 v19, v21, v20
	v_add_f32_e32 v20, v66, v22
	;; [unrolled: 1-line block ×3, first 2 shown]
	v_fma_f32 v22, 0xbf788fa5, v30, -v55
	v_mul_f32_e32 v58, 0x3f29c268, v58
	v_add_f32_e32 v101, v105, v101
	v_fma_f32 v105, 0xbf3f9e67, v30, -v106
	v_mul_f32_e32 v61, 0x3f29c268, v61
	v_add_f32_e32 v18, v23, v18
	v_add_f32_e32 v21, v22, v21
	v_fma_f32 v22, 0xbf3f9e67, v32, -v58
	v_mul_f32_e32 v23, 0x3f62ad3f, v29
	v_add_f32_e32 v101, v105, v101
	v_fma_f32 v105, 0x3f116cb1, v32, -v108
	v_mul_f32_e32 v110, 0xbf6f5d39, v57
	v_fmamk_f32 v65, v33, 0xbf3f9e67, v61
	v_mul_f32_e32 v63, 0x3f7e222b, v63
	v_mul_f32_e32 v57, 0x3f7e222b, v57
	v_add_f32_e32 v21, v22, v21
	v_mul_f32_e32 v22, 0x3f116cb1, v28
	v_add_f32_e32 v23, v42, v23
	v_add_f32_e32 v101, v105, v101
	v_fma_f32 v105, 0xbeb58ec6, v34, -v110
	v_add_f32_e32 v20, v65, v20
	v_fmamk_f32 v65, v35, 0x3df6dbef, v63
	v_fma_f32 v42, 0x3df6dbef, v34, -v57
	v_mul_f32_e32 v64, 0x3eedf032, v64
	v_add_f32_e32 v22, v43, v22
	v_add_f32_e32 v23, v23, v1
	;; [unrolled: 1-line block ×3, first 2 shown]
	v_mul_f32_e32 v105, 0x3f7e222b, v62
	v_add_f32_e32 v20, v65, v20
	v_add_f32_e32 v42, v42, v21
	v_mul_f32_e32 v21, 0x3df6dbef, v31
	v_mul_f32_e32 v43, 0x3eedf032, v62
	v_fmamk_f32 v62, v37, 0x3f62ad3f, v64
	v_add_f32_e32 v22, v22, v23
	v_mul_f32_e32 v23, 0x3f62ad3f, v26
	v_add_f32_e32 v48, v48, v21
	v_mul_f32_e32 v65, 0xbeb58ec6, v33
	;; [unrolled: 2-line block ×3, first 2 shown]
	v_sub_f32_e32 v23, v23, v38
	v_add_f32_e32 v22, v48, v22
	v_add_f32_e32 v38, v49, v65
	v_mul_f32_e32 v48, 0xbf3f9e67, v35
	v_sub_f32_e32 v20, v20, v39
	v_add_f32_e32 v23, v23, v0
	v_mul_f32_e32 v39, 0x3df6dbef, v30
	v_add_f32_e32 v22, v38, v22
	v_add_f32_e32 v38, v51, v48
	v_fma_f32 v48, 0x3f62ad3f, v28, -v98
	v_add_f32_e32 v23, v20, v23
	v_sub_f32_e32 v39, v39, v40
	v_mul_f32_e32 v40, 0xbeb58ec6, v32
	v_add_f32_e32 v22, v38, v22
	v_mul_f32_e32 v38, 0xbf788fa5, v37
	v_add_f32_e32 v4, v4, v85
	v_add_f32_e32 v23, v39, v23
	v_fma_f32 v39, 0xbf788fa5, v29, -v100
	v_sub_f32_e32 v40, v40, v41
	v_add_f32_e32 v38, v54, v38
	v_add_f32_e32 v5, v5, v84
	;; [unrolled: 1-line block ×6, first 2 shown]
	v_fma_f32 v38, 0xbf3f9e67, v31, -v104
	v_add_f32_e32 v5, v7, v5
	v_add_f32_e32 v22, v48, v39
	v_fmac_f32_e32 v88, 0xbf788fa5, v26
	v_add_f32_e32 v4, v24, v4
	v_fma_f32 v24, 0x3f116cb1, v29, -v56
	v_fmac_f32_e32 v52, 0x3f116cb1, v26
	v_add_f32_e32 v7, v38, v22
	v_fma_f32 v38, 0x3f116cb1, v33, -v107
	v_add_f32_e32 v5, v25, v5
	v_add_f32_e32 v25, v88, v0
	v_fmac_f32_e32 v102, 0x3f62ad3f, v27
	v_fma_f32 v49, 0x3f62ad3f, v36, -v43
	v_add_f32_e32 v6, v38, v7
	v_fma_f32 v7, 0xbeb58ec6, v35, -v109
	v_add_f32_e32 v1, v24, v1
	;; [unrolled: 2-line block ×3, first 2 shown]
	v_fmac_f32_e32 v53, 0xbeb58ec6, v27
	v_add_f32_e32 v6, v7, v6
	v_add_f32_e32 v7, v102, v25
	v_fmac_f32_e32 v106, 0xbf3f9e67, v30
	v_add_f32_e32 v20, v49, v42
	v_mul_f32_e32 v42, 0xbf3f9e67, v34
	v_add_f32_e32 v1, v24, v1
	v_fma_f32 v24, 0xbf788fa5, v31, -v60
	v_add_f32_e32 v0, v53, v0
	v_fmac_f32_e32 v55, 0xbf788fa5, v30
	v_add_f32_e32 v7, v106, v7
	v_fmac_f32_e32 v108, 0x3f116cb1, v32
	v_mul_f32_e32 v41, 0xbf788fa5, v36
	v_sub_f32_e32 v42, v42, v47
	v_add_f32_e32 v1, v24, v1
	v_fma_f32 v24, 0xbf3f9e67, v33, -v61
	v_add_f32_e32 v0, v55, v0
	v_fmac_f32_e32 v58, 0xbf3f9e67, v32
	v_fmamk_f32 v111, v36, 0xbeb58ec6, v99
	v_add_f32_e32 v7, v108, v7
	v_fmac_f32_e32 v110, 0xbeb58ec6, v34
	v_add_f32_e32 v39, v42, v40
	v_sub_f32_e32 v40, v41, v50
	v_add_f32_e32 v1, v24, v1
	v_fma_f32 v24, 0x3df6dbef, v35, -v63
	v_add_f32_e32 v0, v58, v0
	v_fmac_f32_e32 v57, 0x3df6dbef, v34
	v_mov_b32_e32 v26, 3
	v_add_f32_e32 v10, v111, v10
	v_fma_f32 v111, 0x3df6dbef, v36, -v105
	v_fma_f32 v25, 0x3df6dbef, v37, -v103
	v_add_f32_e32 v7, v110, v7
	v_fmac_f32_e32 v105, 0x3df6dbef, v36
	v_add_f32_e32 v22, v40, v39
	v_add_f32_e32 v24, v24, v1
	v_fma_f32 v27, 0x3f62ad3f, v37, -v64
	v_add_f32_e32 v28, v57, v0
	v_fmac_f32_e32 v43, 0x3f62ad3f, v36
	v_lshlrev_b32_sdwa v26, v26, v78 dst_sel:DWORD dst_unused:UNUSED_PAD src0_sel:DWORD src1_sel:WORD_0
	v_add_f32_e32 v12, v111, v101
	v_add_f32_e32 v1, v25, v6
	;; [unrolled: 1-line block ×5, first 2 shown]
	ds_write2_b64 v26, v[4:5], v[22:23] offset1:1
	ds_write2_b64 v26, v[20:21], v[18:19] offset0:2 offset1:3
	ds_write2_b64 v26, v[16:17], v[14:15] offset0:4 offset1:5
	;; [unrolled: 1-line block ×5, first 2 shown]
	ds_write_b64 v26, v[45:46] offset:96
.LBB0_7:
	s_or_b32 exec_lo, exec_lo, s4
	v_and_b32_e32 v0, 0xff, v76
	v_add_nc_u16 v2, v76, 52
	v_add_nc_u16 v3, v76, 0x68
	s_load_dwordx4 s[4:7], s[0:1], 0x0
	s_waitcnt lgkmcnt(0)
	v_mul_lo_u16 v0, 0x4f, v0
	s_barrier
	v_and_b32_e32 v4, 0xff, v3
	buffer_gl0_inv
	v_mov_b32_e32 v31, 52
	v_lshrrev_b16 v28, 10, v0
	v_and_b32_e32 v0, 0xff, v2
	v_mul_lo_u16 v4, 0x4f, v4
	v_mad_u64_u32 v[40:41], null, v76, 40, s[2:3]
	v_mul_lo_u16 v1, v28, 13
	v_mul_lo_u16 v0, 0x4f, v0
	v_lshrrev_b16 v30, 10, v4
	v_mul_u32_u24_sdwa v39, v28, v31 dst_sel:DWORD dst_unused:UNUSED_PAD src0_sel:WORD_0 src1_sel:DWORD
	v_sub_nc_u16 v1, v76, v1
	v_lshrrev_b16 v29, 10, v0
	v_mul_lo_u16 v5, v30, 13
	v_mul_u32_u24_sdwa v43, v30, v31 dst_sel:DWORD dst_unused:UNUSED_PAD src0_sel:WORD_0 src1_sel:DWORD
	v_and_b32_e32 v36, 0xff, v1
	v_mul_lo_u16 v4, v29, 13
	v_sub_nc_u16 v3, v3, v5
	v_mul_u32_u24_sdwa v42, v29, v31 dst_sel:DWORD dst_unused:UNUSED_PAD src0_sel:WORD_0 src1_sel:DWORD
	v_mad_u64_u32 v[0:1], null, v36, 24, s[2:3]
	v_sub_nc_u16 v2, v2, v4
	v_and_b32_e32 v38, 0xff, v3
	v_add_lshl_u32 v83, v39, v36, 3
	s_clause 0x1
	global_load_dwordx4 v[8:11], v[0:1], off
	global_load_dwordx2 v[51:52], v[0:1], off offset:16
	v_and_b32_e32 v37, 0xff, v2
	v_mad_u64_u32 v[12:13], null, v38, 24, s[2:3]
	v_add_lshl_u32 v81, v43, v38, 3
	v_mad_u64_u32 v[0:1], null, v37, 24, s[2:3]
	v_add_lshl_u32 v82, v42, v37, 3
	s_clause 0x3
	global_load_dwordx4 v[4:7], v[0:1], off
	global_load_dwordx2 v[49:50], v[0:1], off offset:16
	global_load_dwordx4 v[0:3], v[12:13], off
	global_load_dwordx2 v[47:48], v[12:13], off offset:16
	v_mov_b32_e32 v12, 3
	v_lshlrev_b32_sdwa v79, v12, v76 dst_sel:DWORD dst_unused:UNUSED_PAD src0_sel:DWORD src1_sel:WORD_0
	v_add_nc_u32_e32 v67, 0x800, v79
	ds_read2_b64 v[12:15], v79 offset0:104 offset1:156
	ds_read2_b64 v[16:19], v67 offset0:56 offset1:108
	;; [unrolled: 1-line block ×3, first 2 shown]
	v_add_nc_u32_e32 v68, 0x400, v79
	v_add_nc_u32_e32 v69, 0x1000, v79
	ds_read2_b64 v[24:27], v79 offset1:52
	ds_read2_b64 v[28:31], v68 offset0:80 offset1:132
	ds_read2_b64 v[32:35], v69 offset0:8 offset1:60
	s_waitcnt vmcnt(0) lgkmcnt(0)
	s_barrier
	buffer_gl0_inv
	v_mul_f32_e32 v36, v15, v9
	v_mul_f32_e32 v37, v14, v9
	;; [unrolled: 1-line block ×6, first 2 shown]
	v_fma_f32 v14, v14, v8, -v36
	v_fmac_f32_e32 v37, v15, v8
	v_fma_f32 v15, v16, v10, -v38
	v_fmac_f32_e32 v39, v17, v10
	;; [unrolled: 2-line block ×3, first 2 shown]
	v_mul_f32_e32 v17, v29, v5
	v_mul_f32_e32 v22, v28, v5
	;; [unrolled: 1-line block ×12, first 2 shown]
	v_fma_f32 v28, v28, v4, -v17
	v_fmac_f32_e32 v22, v29, v4
	v_fma_f32 v17, v18, v6, -v23
	v_fmac_f32_e32 v36, v19, v6
	;; [unrolled: 2-line block ×3, first 2 shown]
	v_fmac_f32_e32 v56, v21, v2
	v_sub_f32_e32 v21, v24, v15
	v_sub_f32_e32 v29, v25, v39
	;; [unrolled: 1-line block ×4, first 2 shown]
	v_fma_f32 v23, v30, v0, -v53
	v_fmac_f32_e32 v54, v31, v0
	v_fma_f32 v19, v20, v2, -v55
	v_fma_f32 v20, v34, v47, -v57
	v_fmac_f32_e32 v58, v35, v47
	v_fma_f32 v24, v24, 2.0, -v21
	v_fma_f32 v25, v25, 2.0, -v29
	;; [unrolled: 1-line block ×4, first 2 shown]
	v_sub_f32_e32 v32, v26, v17
	v_sub_f32_e32 v33, v27, v36
	;; [unrolled: 1-line block ×5, first 2 shown]
	v_add_f32_e32 v15, v29, v15
	v_sub_f32_e32 v36, v12, v19
	v_sub_f32_e32 v37, v13, v56
	;; [unrolled: 1-line block ×6, first 2 shown]
	v_fma_f32 v42, v26, 2.0, -v32
	v_fma_f32 v43, v27, 2.0, -v33
	;; [unrolled: 1-line block ×6, first 2 shown]
	v_sub_f32_e32 v20, v32, v35
	v_add_f32_e32 v21, v33, v34
	v_fma_f32 v34, v12, 2.0, -v36
	v_fma_f32 v35, v13, 2.0, -v37
	;; [unrolled: 1-line block ×6, first 2 shown]
	v_sub_f32_e32 v24, v42, v26
	v_sub_f32_e32 v25, v43, v27
	;; [unrolled: 1-line block ×3, first 2 shown]
	v_add_f32_e32 v13, v37, v38
	v_sub_f32_e32 v28, v34, v28
	v_sub_f32_e32 v29, v35, v29
	v_fma_f32 v26, v32, 2.0, -v20
	v_fma_f32 v27, v33, 2.0, -v21
	;; [unrolled: 1-line block ×8, first 2 shown]
	ds_write2_b64 v83, v[16:17], v[14:15] offset0:26 offset1:39
	ds_write2_b64 v83, v[22:23], v[18:19] offset1:13
	ds_write2_b64 v82, v[24:25], v[20:21] offset0:26 offset1:39
	ds_write2_b64 v82, v[32:33], v[26:27] offset1:13
	ds_write2_b64 v81, v[34:35], v[30:31] offset1:13
	ds_write2_b64 v81, v[28:29], v[12:13] offset0:26 offset1:39
	s_waitcnt lgkmcnt(0)
	s_barrier
	buffer_gl0_inv
	s_clause 0x2
	global_load_dwordx4 v[16:19], v[40:41], off offset:312
	global_load_dwordx4 v[12:15], v[40:41], off offset:328
	global_load_dwordx2 v[53:54], v[40:41], off offset:344
	ds_read2_b64 v[20:23], v79 offset0:104 offset1:156
	ds_read2_b64 v[24:27], v68 offset0:80 offset1:132
	;; [unrolled: 1-line block ×5, first 2 shown]
	v_lshlrev_b32_e32 v42, 5, v76
	v_sub_co_u32 v63, s0, v40, v42
	v_subrev_co_ci_u32_e64 v64, s0, 0, v41, s0
	ds_read2_b64 v[40:43], v79 offset1:52
	v_add_co_u32 v61, s0, 0x800, v63
	v_add_co_ci_u32_e64 v62, s0, 0, v64, s0
	s_waitcnt vmcnt(0) lgkmcnt(0)
	s_barrier
	buffer_gl0_inv
	v_mul_f32_e32 v55, v21, v17
	v_mul_f32_e32 v56, v20, v17
	;; [unrolled: 1-line block ×20, first 2 shown]
	v_fma_f32 v55, v20, v16, -v55
	v_fmac_f32_e32 v56, v21, v16
	v_fma_f32 v20, v24, v18, -v57
	v_fmac_f32_e32 v58, v25, v18
	;; [unrolled: 2-line block ×3, first 2 shown]
	v_fma_f32 v24, v32, v14, -v65
	v_fma_f32 v25, v36, v53, -v70
	v_fmac_f32_e32 v71, v37, v53
	v_fmac_f32_e32 v66, v33, v14
	;; [unrolled: 1-line block ×4, first 2 shown]
	v_fma_f32 v23, v30, v12, -v86
	v_fmac_f32_e32 v87, v31, v12
	v_fmac_f32_e32 v89, v35, v14
	v_fma_f32 v27, v38, v53, -v90
	v_fmac_f32_e32 v91, v39, v53
	v_fma_f32 v28, v22, v16, -v72
	v_fma_f32 v22, v26, v18, -v84
	;; [unrolled: 1-line block ×3, first 2 shown]
	v_add_f32_e32 v30, v20, v24
	v_add_f32_e32 v35, v21, v25
	;; [unrolled: 1-line block ×4, first 2 shown]
	v_sub_f32_e32 v31, v58, v66
	v_add_f32_e32 v32, v41, v58
	v_add_f32_e32 v33, v58, v66
	;; [unrolled: 1-line block ×3, first 2 shown]
	v_sub_f32_e32 v36, v60, v71
	v_add_f32_e32 v37, v56, v60
	v_sub_f32_e32 v58, v85, v89
	v_add_f32_e32 v59, v43, v85
	v_add_f32_e32 v60, v85, v89
	;; [unrolled: 1-line block ×4, first 2 shown]
	v_sub_f32_e32 v21, v21, v25
	v_add_f32_e32 v39, v42, v22
	v_add_f32_e32 v57, v22, v26
	v_sub_f32_e32 v65, v22, v26
	v_add_f32_e32 v22, v28, v23
	v_add_f32_e32 v84, v80, v87
	v_fma_f32 v40, -0.5, v30, v40
	v_fmac_f32_e32 v55, -0.5, v35
	v_fmac_f32_e32 v56, -0.5, v38
	v_sub_f32_e32 v20, v20, v24
	v_sub_f32_e32 v72, v87, v91
	;; [unrolled: 1-line block ×3, first 2 shown]
	v_add_f32_e32 v23, v29, v24
	v_add_f32_e32 v24, v32, v66
	v_fma_f32 v41, -0.5, v33, v41
	v_add_f32_e32 v25, v34, v25
	v_add_f32_e32 v29, v37, v71
	v_fmac_f32_e32 v28, -0.5, v70
	v_fmac_f32_e32 v80, -0.5, v85
	v_add_f32_e32 v26, v39, v26
	v_add_f32_e32 v30, v59, v89
	;; [unrolled: 1-line block ×4, first 2 shown]
	v_fmamk_f32 v33, v31, 0x3f5db3d7, v40
	v_fmac_f32_e32 v40, 0xbf5db3d7, v31
	v_fmamk_f32 v31, v36, 0x3f5db3d7, v55
	v_fmamk_f32 v34, v21, 0xbf5db3d7, v56
	v_fmac_f32_e32 v55, 0xbf5db3d7, v36
	v_fmac_f32_e32 v56, 0x3f5db3d7, v21
	v_fma_f32 v42, -0.5, v57, v42
	v_fmac_f32_e32 v43, -0.5, v60
	v_fmamk_f32 v35, v20, 0xbf5db3d7, v41
	v_fmac_f32_e32 v41, 0x3f5db3d7, v20
	v_add_f32_e32 v20, v23, v25
	v_add_f32_e32 v21, v24, v29
	v_sub_f32_e32 v22, v23, v25
	v_sub_f32_e32 v23, v24, v29
	v_fmamk_f32 v29, v72, 0x3f5db3d7, v28
	v_fmamk_f32 v36, v86, 0xbf5db3d7, v80
	v_fmac_f32_e32 v28, 0xbf5db3d7, v72
	v_fmac_f32_e32 v80, 0x3f5db3d7, v86
	v_add_f32_e32 v24, v26, v27
	v_add_f32_e32 v25, v30, v32
	v_sub_f32_e32 v26, v26, v27
	v_sub_f32_e32 v27, v30, v32
	v_mul_f32_e32 v32, 0x3f5db3d7, v34
	v_mul_f32_e32 v38, 0xbf5db3d7, v31
	v_mul_f32_e32 v37, -0.5, v55
	v_mul_f32_e32 v39, -0.5, v56
	v_fmamk_f32 v57, v58, 0x3f5db3d7, v42
	v_fmac_f32_e32 v42, 0xbf5db3d7, v58
	v_fmamk_f32 v58, v65, 0xbf5db3d7, v43
	v_fmac_f32_e32 v43, 0x3f5db3d7, v65
	v_mul_f32_e32 v59, 0x3f5db3d7, v36
	v_mul_f32_e32 v65, 0xbf5db3d7, v29
	v_mul_f32_e32 v60, -0.5, v28
	v_mul_f32_e32 v66, -0.5, v80
	v_fmac_f32_e32 v32, 0.5, v31
	v_fmac_f32_e32 v38, 0.5, v34
	v_fmac_f32_e32 v37, 0x3f5db3d7, v56
	v_fmac_f32_e32 v39, 0xbf5db3d7, v55
	v_fmac_f32_e32 v59, 0.5, v29
	v_fmac_f32_e32 v65, 0.5, v36
	v_fmac_f32_e32 v60, 0x3f5db3d7, v80
	v_fmac_f32_e32 v66, 0xbf5db3d7, v28
	v_add_f32_e32 v28, v33, v32
	v_add_f32_e32 v29, v35, v38
	;; [unrolled: 1-line block ×4, first 2 shown]
	v_sub_f32_e32 v32, v33, v32
	v_sub_f32_e32 v34, v40, v37
	;; [unrolled: 1-line block ×4, first 2 shown]
	v_add_f32_e32 v36, v57, v59
	v_add_f32_e32 v37, v58, v65
	;; [unrolled: 1-line block ×4, first 2 shown]
	v_sub_f32_e32 v40, v57, v59
	v_sub_f32_e32 v42, v42, v60
	;; [unrolled: 1-line block ×4, first 2 shown]
	ds_write2_b64 v79, v[20:21], v[28:29] offset1:52
	ds_write2_b64 v79, v[30:31], v[22:23] offset0:104 offset1:156
	ds_write2_b64 v68, v[32:33], v[34:35] offset0:80 offset1:132
	;; [unrolled: 1-line block ×5, first 2 shown]
	v_add_co_u32 v20, s0, 0x1000, v63
	v_add_co_ci_u32_e64 v21, s0, 0, v64, s0
	s_waitcnt lgkmcnt(0)
	s_barrier
	buffer_gl0_inv
	s_clause 0x5
	global_load_dwordx2 v[57:58], v[61:62], off offset:344
	global_load_dwordx2 v[59:60], v[61:62], off offset:760
	;; [unrolled: 1-line block ×6, first 2 shown]
	ds_read2_b64 v[20:23], v67 offset0:56 offset1:108
	ds_read2_b64 v[24:27], v67 offset0:160 offset1:212
	;; [unrolled: 1-line block ×3, first 2 shown]
	ds_read2_b64 v[84:87], v79 offset1:52
	ds_read2_b64 v[88:91], v79 offset0:104 offset1:156
	ds_read2_b64 v[92:95], v68 offset0:80 offset1:132
	v_lshlrev_b32_e32 v80, 3, v76
	s_waitcnt vmcnt(5) lgkmcnt(5)
	v_mul_f32_e32 v32, v21, v58
	v_mul_f32_e32 v33, v20, v58
	s_waitcnt vmcnt(4)
	v_mul_f32_e32 v34, v23, v60
	v_mul_f32_e32 v35, v22, v60
	s_waitcnt vmcnt(3) lgkmcnt(4)
	v_mul_f32_e32 v36, v25, v56
	v_mul_f32_e32 v37, v24, v56
	s_waitcnt vmcnt(2)
	v_mul_f32_e32 v38, v27, v66
	v_mul_f32_e32 v40, v26, v66
	;; [unrolled: 6-line block ×3, first 2 shown]
	v_fma_f32 v20, v20, v57, -v32
	v_fmac_f32_e32 v33, v21, v57
	v_fma_f32 v21, v22, v59, -v34
	v_fmac_f32_e32 v35, v23, v59
	;; [unrolled: 2-line block ×6, first 2 shown]
	s_waitcnt lgkmcnt(2)
	v_sub_f32_e32 v22, v84, v20
	v_sub_f32_e32 v23, v85, v33
	v_sub_f32_e32 v42, v86, v21
	v_sub_f32_e32 v43, v87, v35
	s_waitcnt lgkmcnt(1)
	v_sub_f32_e32 v38, v88, v24
	v_sub_f32_e32 v39, v89, v37
	v_sub_f32_e32 v34, v90, v25
	v_sub_f32_e32 v35, v91, v40
	;; [unrolled: 5-line block ×3, first 2 shown]
	v_fma_f32 v20, v84, 2.0, -v22
	v_fma_f32 v21, v85, 2.0, -v23
	;; [unrolled: 1-line block ×12, first 2 shown]
	ds_write2_b64 v67, v[22:23], v[42:43] offset0:56 offset1:108
	ds_write2_b64 v67, v[38:39], v[34:35] offset0:160 offset1:212
	;; [unrolled: 1-line block ×3, first 2 shown]
	ds_write2_b64 v79, v[20:21], v[40:41] offset1:52
	ds_write2_b64 v79, v[36:37], v[32:33] offset0:104 offset1:156
	ds_write2_b64 v68, v[28:29], v[24:25] offset0:80 offset1:132
	s_waitcnt lgkmcnt(0)
	s_barrier
	buffer_gl0_inv
	s_and_saveexec_b32 s1, vcc_lo
	s_cbranch_execz .LBB0_9
; %bb.8:
	s_add_u32 s2, s14, 0x1380
	s_addc_u32 s3, s15, 0
	v_add_co_u32 v85, s0, s2, v77
	global_load_dwordx2 v[67:68], v77, s[2:3]
	v_add_co_ci_u32_e64 v86, null, s3, 0, s0
	v_add_co_u32 v69, s0, 0x800, v85
	v_or_b32_e32 v84, 0xc00, v77
	v_add_co_ci_u32_e64 v70, s0, 0, v86, s0
	s_clause 0x7
	global_load_dwordx2 v[71:72], v77, s[2:3] offset:384
	global_load_dwordx2 v[104:105], v77, s[2:3] offset:768
	;; [unrolled: 1-line block ×5, first 2 shown]
	global_load_dwordx2 v[112:113], v84, s[2:3]
	global_load_dwordx2 v[114:115], v[69:70], off offset:256
	global_load_dwordx2 v[116:117], v[69:70], off offset:640
	v_add_co_u32 v84, s0, 0x1000, v85
	v_add_co_ci_u32_e64 v85, s0, 0, v86, s0
	v_or_b32_e32 v86, 0x1200, v77
	s_clause 0x3
	global_load_dwordx2 v[118:119], v[69:70], off offset:1408
	global_load_dwordx2 v[120:121], v[69:70], off offset:1792
	;; [unrolled: 1-line block ×3, first 2 shown]
	global_load_dwordx2 v[124:125], v86, s[2:3]
	ds_read_b64 v[69:70], v79
	v_add_nc_u32_e32 v127, 0x400, v80
	v_add_nc_u32_e32 v128, 0x800, v80
	;; [unrolled: 1-line block ×3, first 2 shown]
	s_waitcnt vmcnt(12) lgkmcnt(0)
	v_mul_f32_e32 v84, v70, v68
	v_mul_f32_e32 v85, v69, v68
	v_fma_f32 v84, v69, v67, -v84
	v_fmac_f32_e32 v85, v70, v67
	ds_write_b64 v79, v[84:85]
	ds_read2_b64 v[67:70], v80 offset0:48 offset1:96
	ds_read2_b64 v[84:87], v80 offset0:144 offset1:192
	ds_read2_b64 v[88:91], v127 offset0:112 offset1:160
	ds_read2_b64 v[92:95], v128 offset0:80 offset1:128
	ds_read2_b64 v[96:99], v128 offset0:176 offset1:224
	ds_read2_b64 v[100:103], v129 offset0:16 offset1:64
	s_waitcnt vmcnt(11) lgkmcnt(5)
	v_mul_f32_e32 v130, v68, v72
	v_mul_f32_e32 v126, v67, v72
	s_waitcnt vmcnt(10)
	v_mul_f32_e32 v131, v70, v105
	v_mul_f32_e32 v72, v69, v105
	s_waitcnt vmcnt(9) lgkmcnt(4)
	v_mul_f32_e32 v132, v85, v107
	v_mul_f32_e32 v105, v84, v107
	s_waitcnt vmcnt(8)
	v_mul_f32_e32 v133, v87, v109
	v_mul_f32_e32 v107, v86, v109
	;; [unrolled: 6-line block ×3, first 2 shown]
	s_waitcnt vmcnt(4) lgkmcnt(2)
	v_mul_f32_e32 v136, v93, v117
	v_mul_f32_e32 v115, v92, v117
	;; [unrolled: 1-line block ×4, first 2 shown]
	s_waitcnt vmcnt(3) lgkmcnt(1)
	v_mul_f32_e32 v138, v97, v119
	v_mul_f32_e32 v113, v96, v119
	s_waitcnt vmcnt(2)
	v_mul_f32_e32 v139, v99, v121
	v_mul_f32_e32 v119, v98, v121
	s_waitcnt vmcnt(1) lgkmcnt(0)
	v_mul_f32_e32 v140, v101, v123
	v_mul_f32_e32 v121, v100, v123
	s_waitcnt vmcnt(0)
	v_mul_f32_e32 v141, v103, v125
	v_mul_f32_e32 v123, v102, v125
	v_fma_f32 v125, v67, v71, -v130
	v_fmac_f32_e32 v126, v68, v71
	v_fma_f32 v71, v69, v104, -v131
	v_fmac_f32_e32 v72, v70, v104
	v_fma_f32 v104, v84, v106, -v132
	v_fmac_f32_e32 v105, v85, v106
	v_fma_f32 v106, v86, v108, -v133
	v_fmac_f32_e32 v107, v87, v108
	v_fma_f32 v108, v88, v110, -v134
	v_fmac_f32_e32 v109, v89, v110
	v_fma_f32 v110, v90, v114, -v135
	v_fmac_f32_e32 v111, v91, v114
	v_fma_f32 v114, v92, v116, -v136
	v_fmac_f32_e32 v115, v93, v116
	v_fma_f32 v116, v94, v112, -v137
	v_fmac_f32_e32 v117, v95, v112
	v_fma_f32 v112, v96, v118, -v138
	v_fmac_f32_e32 v113, v97, v118
	v_fma_f32 v118, v98, v120, -v139
	v_fmac_f32_e32 v119, v99, v120
	v_fma_f32 v120, v100, v122, -v140
	v_fmac_f32_e32 v121, v101, v122
	v_fma_f32 v122, v102, v124, -v141
	v_fmac_f32_e32 v123, v103, v124
	ds_write2_b64 v80, v[125:126], v[71:72] offset0:48 offset1:96
	ds_write2_b64 v80, v[104:105], v[106:107] offset0:144 offset1:192
	;; [unrolled: 1-line block ×6, first 2 shown]
.LBB0_9:
	s_or_b32 exec_lo, exec_lo, s1
	s_waitcnt lgkmcnt(0)
	s_barrier
	buffer_gl0_inv
	s_and_saveexec_b32 s0, vcc_lo
	s_cbranch_execz .LBB0_11
; %bb.10:
	v_add_nc_u32_e32 v24, 0x800, v79
	v_add_nc_u32_e32 v25, 0xc00, v79
	ds_read2_b64 v[20:23], v79 offset1:48
	ds_read2_b64 v[40:43], v79 offset0:96 offset1:144
	ds_read2_b64 v[36:39], v79 offset0:192 offset1:240
	;; [unrolled: 1-line block ×5, first 2 shown]
	ds_read_b64 v[45:46], v79 offset:4608
.LBB0_11:
	s_or_b32 exec_lo, exec_lo, s0
	s_waitcnt lgkmcnt(0)
	s_barrier
	buffer_gl0_inv
	s_and_saveexec_b32 s0, vcc_lo
	s_cbranch_execz .LBB0_13
; %bb.12:
	v_sub_f32_e32 v88, v22, v45
	v_add_f32_e32 v104, v46, v23
	v_sub_f32_e32 v86, v40, v26
	v_add_f32_e32 v106, v27, v41
	v_sub_f32_e32 v84, v42, v24
	v_mul_f32_e32 v100, 0xbf7e222b, v88
	v_add_f32_e32 v107, v25, v43
	v_mul_f32_e32 v101, 0xbe750f2a, v86
	v_sub_f32_e32 v85, v36, v30
	v_mul_f32_e32 v102, 0x3f6f5d39, v84
	v_fmamk_f32 v67, v104, 0x3df6dbef, v100
	v_sub_f32_e32 v110, v23, v46
	v_fmamk_f32 v68, v106, 0xbf788fa5, v101
	v_add_f32_e32 v108, v31, v37
	v_sub_f32_e32 v87, v38, v28
	v_add_f32_e32 v67, v21, v67
	v_add_f32_e32 v90, v45, v22
	v_mul_f32_e32 v103, 0x3eedf032, v85
	v_fmamk_f32 v69, v107, 0xbeb58ec6, v102
	v_sub_f32_e32 v111, v41, v27
	v_add_f32_e32 v67, v68, v67
	v_mul_f32_e32 v112, 0xbf7e222b, v110
	v_add_f32_e32 v109, v29, v39
	v_mul_f32_e32 v105, 0xbf52af12, v87
	v_fmamk_f32 v68, v108, 0x3f62ad3f, v103
	v_add_f32_e32 v67, v69, v67
	v_add_f32_e32 v91, v26, v40
	v_mul_f32_e32 v113, 0xbe750f2a, v111
	v_fma_f32 v70, 0x3df6dbef, v90, -v112
	v_sub_f32_e32 v114, v43, v25
	v_fmamk_f32 v69, v109, 0x3f116cb1, v105
	v_add_f32_e32 v67, v68, v67
	v_sub_f32_e32 v89, v32, v34
	v_fma_f32 v68, 0xbf788fa5, v91, -v113
	v_add_f32_e32 v70, v20, v70
	v_add_f32_e32 v92, v24, v42
	v_mul_f32_e32 v115, 0x3f6f5d39, v114
	v_sub_f32_e32 v117, v37, v31
	v_add_f32_e32 v67, v69, v67
	v_mul_f32_e32 v116, 0xbf29c268, v89
	v_add_f32_e32 v118, v35, v33
	v_add_f32_e32 v68, v68, v70
	v_fma_f32 v69, 0xbeb58ec6, v92, -v115
	v_add_f32_e32 v93, v30, v36
	v_mul_f32_e32 v119, 0x3eedf032, v117
	v_sub_f32_e32 v120, v39, v29
	v_fmamk_f32 v70, v118, 0xbf3f9e67, v116
	v_add_f32_e32 v69, v69, v68
	v_mul_f32_e32 v98, 0xbf6f5d39, v88
	v_fma_f32 v71, 0x3f62ad3f, v93, -v119
	v_add_f32_e32 v95, v28, v38
	v_mul_f32_e32 v121, 0xbf52af12, v120
	v_sub_f32_e32 v122, v33, v35
	v_add_f32_e32 v68, v70, v67
	v_add_f32_e32 v67, v71, v69
	v_fmamk_f32 v69, v104, 0xbeb58ec6, v98
	v_mul_f32_e32 v99, 0x3f29c268, v86
	v_fma_f32 v70, 0x3f116cb1, v95, -v121
	v_add_f32_e32 v94, v34, v32
	v_mul_f32_e32 v123, 0xbf29c268, v122
	v_add_f32_e32 v69, v21, v69
	v_fmamk_f32 v71, v106, 0xbf3f9e67, v99
	v_mul_f32_e32 v124, 0x3eedf032, v84
	v_add_f32_e32 v67, v70, v67
	v_fma_f32 v70, 0xbf3f9e67, v94, -v123
	v_mul_f32_e32 v125, 0xbf6f5d39, v110
	v_add_f32_e32 v69, v71, v69
	v_fmamk_f32 v71, v107, 0x3f62ad3f, v124
	v_mul_f32_e32 v126, 0xbf7e222b, v85
	v_add_f32_e32 v67, v70, v67
	v_fma_f32 v70, 0xbeb58ec6, v90, -v125
	;; [unrolled: 6-line block ×13, first 2 shown]
	v_mul_f32_e32 v150, 0xbe750f2a, v110
	v_add_f32_e32 v97, v148, v97
	v_fmamk_f32 v148, v84, 0x3f29c268, v149
	v_mul_f32_e32 v151, 0x3f116cb1, v108
	v_add_f32_e32 v71, v140, v71
	v_fmamk_f32 v140, v90, 0xbf788fa5, v150
	;; [unrolled: 3-line block ×7, first 2 shown]
	v_fma_f32 v96, 0xbf3f9e67, v104, -v96
	v_add_f32_e32 v140, v154, v140
	v_fmamk_f32 v154, v93, 0x3f116cb1, v157
	v_mul_f32_e32 v158, 0xbf6f5d39, v120
	v_add_f32_e32 v97, v148, v97
	v_add_f32_e32 v96, v21, v96
	v_fma_f32 v133, 0x3df6dbef, v106, -v133
	v_add_f32_e32 v140, v154, v140
	v_fmamk_f32 v148, v95, 0xbeb58ec6, v158
	v_mul_f32_e32 v154, 0x3f7e222b, v122
	v_fmac_f32_e32 v136, 0xbf3f9e67, v90
	v_add_f32_e32 v96, v133, v96
	v_fma_f32 v133, 0x3f116cb1, v107, -v135
	v_add_f32_e32 v135, v148, v140
	v_fmamk_f32 v140, v94, 0x3df6dbef, v154
	v_add_f32_e32 v136, v20, v136
	v_fmac_f32_e32 v139, 0x3df6dbef, v91
	v_fma_f32 v98, 0xbeb58ec6, v104, -v98
	v_add_f32_e32 v133, v133, v96
	v_add_f32_e32 v96, v140, v135
	v_fmac_f32_e32 v141, 0x3f116cb1, v92
	v_add_f32_e32 v135, v139, v136
	v_add_f32_e32 v98, v21, v98
	v_fma_f32 v99, 0xbf3f9e67, v106, -v99
	v_fmac_f32_e32 v143, 0xbf788fa5, v93
	v_fma_f32 v124, 0x3f62ad3f, v107, -v124
	v_add_f32_e32 v135, v141, v135
	v_fmac_f32_e32 v125, 0xbeb58ec6, v90
	v_add_f32_e32 v98, v99, v98
	v_fmac_f32_e32 v145, 0x3f62ad3f, v95
	v_fmac_f32_e32 v127, 0xbf3f9e67, v91
	v_add_f32_e32 v135, v143, v135
	v_add_f32_e32 v125, v20, v125
	v_add_f32_e32 v98, v124, v98
	v_fma_f32 v124, 0x3df6dbef, v108, -v126
	v_fma_f32 v100, 0x3df6dbef, v104, -v100
	v_add_f32_e32 v23, v23, v21
	v_add_f32_e32 v126, v145, v135
	v_fmac_f32_e32 v147, 0xbeb58ec6, v94
	v_add_f32_e32 v124, v124, v98
	v_fma_f32 v128, 0xbf788fa5, v109, -v128
	v_add_f32_e32 v125, v127, v125
	v_fmac_f32_e32 v129, 0x3f62ad3f, v92
	v_add_f32_e32 v100, v21, v100
	v_fma_f32 v127, 0xbf788fa5, v106, -v101
	v_add_f32_e32 v23, v41, v23
	v_add_f32_e32 v22, v22, v20
	;; [unrolled: 1-line block ×4, first 2 shown]
	v_fma_f32 v126, 0x3f116cb1, v118, -v130
	v_add_f32_e32 v125, v129, v125
	v_fmac_f32_e32 v131, 0x3df6dbef, v93
	v_fmac_f32_e32 v112, 0x3df6dbef, v90
	v_add_f32_e32 v100, v127, v100
	v_fma_f32 v102, 0xbeb58ec6, v107, -v102
	v_add_f32_e32 v23, v43, v23
	v_add_f32_e32 v22, v40, v22
	;; [unrolled: 1-line block ×4, first 2 shown]
	v_fmac_f32_e32 v132, 0xbf788fa5, v95
	v_add_f32_e32 v112, v20, v112
	v_fmac_f32_e32 v113, 0xbf788fa5, v91
	v_add_f32_e32 v100, v102, v100
	v_fma_f32 v102, 0x3f62ad3f, v108, -v103
	v_mul_f32_e32 v40, 0xbeedf032, v110
	v_add_f32_e32 v23, v37, v23
	v_add_f32_e32 v22, v42, v22
	;; [unrolled: 1-line block ×3, first 2 shown]
	v_fmac_f32_e32 v134, 0x3f116cb1, v94
	v_add_f32_e32 v112, v113, v112
	v_fmac_f32_e32 v115, 0xbeb58ec6, v92
	v_add_f32_e32 v102, v102, v100
	v_fma_f32 v105, 0x3f116cb1, v109, -v105
	v_mul_f32_e32 v113, 0x3f116cb1, v104
	v_fmamk_f32 v37, v90, 0x3f62ad3f, v40
	v_mul_f32_e32 v42, 0xbf52af12, v111
	v_add_f32_e32 v23, v39, v23
	v_add_f32_e32 v22, v36, v22
	;; [unrolled: 1-line block ×4, first 2 shown]
	v_fmac_f32_e32 v119, 0x3f62ad3f, v93
	v_add_f32_e32 v102, v105, v102
	v_fma_f32 v105, 0xbf3f9e67, v118, -v116
	v_fmamk_f32 v112, v88, 0x3f52af12, v113
	v_mul_f32_e32 v115, 0xbeb58ec6, v106
	v_add_f32_e32 v36, v20, v37
	v_fmamk_f32 v37, v91, 0x3f116cb1, v42
	v_mul_f32_e32 v39, 0xbf7e222b, v114
	v_add_f32_e32 v23, v33, v23
	v_add_f32_e32 v22, v38, v22
	;; [unrolled: 1-line block ×3, first 2 shown]
	v_fmac_f32_e32 v121, 0x3f116cb1, v95
	v_add_f32_e32 v103, v105, v102
	v_add_f32_e32 v102, v21, v112
	v_fmamk_f32 v105, v86, 0x3f6f5d39, v115
	v_mul_f32_e32 v112, 0xbf788fa5, v107
	v_add_f32_e32 v36, v37, v36
	v_fmamk_f32 v37, v92, 0x3df6dbef, v39
	v_add_f32_e32 v23, v35, v23
	v_add_f32_e32 v22, v32, v22
	v_mul_f32_e32 v32, 0xbf6f5d39, v117
	v_add_f32_e32 v116, v121, v116
	v_fmac_f32_e32 v123, 0xbf3f9e67, v94
	v_mul_f32_e32 v119, 0xbf52af12, v110
	v_add_f32_e32 v105, v105, v102
	v_fmamk_f32 v121, v84, 0x3e750f2a, v112
	v_mul_f32_e32 v124, 0xbf3f9e67, v108
	v_add_f32_e32 v36, v37, v36
	v_add_f32_e32 v29, v29, v23
	v_add_f32_e32 v22, v34, v22
	v_fmamk_f32 v34, v93, 0xbeb58ec6, v32
	v_mul_f32_e32 v37, 0xbf29c268, v120
	v_add_f32_e32 v102, v123, v116
	v_fmamk_f32 v116, v90, 0x3f116cb1, v119
	v_mul_f32_e32 v123, 0xbf6f5d39, v111
	v_add_f32_e32 v105, v121, v105
	;; [unrolled: 3-line block ×3, first 2 shown]
	v_add_f32_e32 v22, v28, v22
	v_add_f32_e32 v28, v34, v36
	v_fmamk_f32 v31, v95, 0xbf3f9e67, v37
	v_mul_f32_e32 v34, 0xbe750f2a, v122
	v_add_f32_e32 v116, v20, v116
	v_fmamk_f32 v126, v91, 0xbeb58ec6, v123
	v_mul_f32_e32 v127, 0xbe750f2a, v114
	;; [unrolled: 3-line block ×3, first 2 shown]
	v_add_f32_e32 v25, v25, v29
	v_add_f32_e32 v22, v30, v22
	v_fmac_f32_e32 v144, 0xbe750f2a, v88
	v_add_f32_e32 v28, v31, v28
	v_fmamk_f32 v29, v94, 0xbf788fa5, v34
	v_add_f32_e32 v116, v126, v116
	v_fmamk_f32 v126, v92, 0xbf788fa5, v127
	v_mul_f32_e32 v129, 0x3f29c268, v117
	v_add_f32_e32 v105, v121, v105
	v_fmamk_f32 v121, v89, 0xbeedf032, v128
	v_mul_f32_e32 v130, 0x3f62ad3f, v104
	v_add_f32_e32 v25, v27, v25
	v_add_f32_e32 v24, v24, v22
	;; [unrolled: 1-line block ×3, first 2 shown]
	v_fmac_f32_e32 v146, 0x3eedf032, v86
	v_add_f32_e32 v22, v29, v28
	v_fma_f32 v28, 0xbf788fa5, v90, -v150
	v_add_f32_e32 v104, v126, v116
	v_fmamk_f32 v116, v93, 0xbf3f9e67, v129
	v_mul_f32_e32 v126, 0x3f7e222b, v120
	v_add_f32_e32 v105, v121, v105
	v_fmamk_f32 v121, v88, 0x3eedf032, v130
	v_mul_f32_e32 v106, 0x3f116cb1, v106
	v_add_f32_e32 v24, v26, v24
	v_add_f32_e32 v26, v146, v27
	v_fmac_f32_e32 v149, 0xbf29c268, v84
	v_add_f32_e32 v27, v20, v28
	v_fma_f32 v28, 0x3f62ad3f, v91, -v152
	v_fmac_f32_e32 v113, 0xbf52af12, v88
	v_add_f32_e32 v104, v116, v104
	v_fmamk_f32 v116, v95, 0x3df6dbef, v126
	v_mul_f32_e32 v131, 0x3eedf032, v122
	v_add_f32_e32 v121, v21, v121
	v_fmamk_f32 v132, v86, 0x3f52af12, v106
	v_mul_f32_e32 v107, 0x3df6dbef, v107
	v_add_f32_e32 v26, v149, v26
	v_fmac_f32_e32 v151, 0x3f52af12, v85
	v_add_f32_e32 v27, v28, v27
	v_fma_f32 v28, 0xbf3f9e67, v92, -v155
	v_add_f32_e32 v29, v21, v113
	v_fmac_f32_e32 v115, 0xbf6f5d39, v86
	v_fma_f32 v138, 0xbf788fa5, v108, -v138
	v_add_f32_e32 v104, v116, v104
	v_fmamk_f32 v116, v94, 0x3f62ad3f, v131
	v_add_f32_e32 v121, v132, v121
	v_fmamk_f32 v132, v84, 0x3f7e222b, v107
	v_mul_f32_e32 v108, 0xbeb58ec6, v108
	v_add_f32_e32 v26, v151, v26
	v_fmac_f32_e32 v153, 0xbf6f5d39, v87
	v_add_f32_e32 v27, v28, v27
	v_fma_f32 v28, 0x3f116cb1, v93, -v157
	v_add_f32_e32 v29, v115, v29
	v_fmac_f32_e32 v112, 0xbe750f2a, v84
	v_fma_f32 v136, 0x3f62ad3f, v109, -v137
	v_add_f32_e32 v104, v116, v104
	v_add_f32_e32 v41, v132, v121
	v_fmamk_f32 v116, v85, 0x3f6f5d39, v108
	v_mul_f32_e32 v109, 0xbf3f9e67, v109
	v_add_f32_e32 v26, v153, v26
	v_fmac_f32_e32 v156, 0x3f7e222b, v89
	v_add_f32_e32 v28, v28, v27
	v_fma_f32 v30, 0xbeb58ec6, v95, -v158
	v_add_f32_e32 v29, v112, v29
	v_fmac_f32_e32 v124, 0x3f29c268, v85
	v_add_f32_e32 v41, v116, v41
	v_fmamk_f32 v43, v87, 0x3f29c268, v109
	v_mul_f32_e32 v33, 0xbf788fa5, v118
	v_add_f32_e32 v27, v156, v26
	v_fma_f32 v26, 0x3f116cb1, v90, -v119
	v_add_f32_e32 v28, v30, v28
	v_fma_f32 v30, 0x3df6dbef, v94, -v154
	v_add_f32_e32 v29, v124, v29
	v_fmac_f32_e32 v125, 0x3f7e222b, v87
	v_add_f32_e32 v41, v43, v41
	v_fmamk_f32 v35, v89, 0x3e750f2a, v33
	v_add_f32_e32 v31, v20, v26
	v_add_f32_e32 v26, v30, v28
	v_fmac_f32_e32 v130, 0xbeedf032, v88
	v_add_f32_e32 v28, v125, v29
	v_fma_f32 v29, 0x3f62ad3f, v90, -v40
	v_add_f32_e32 v23, v35, v41
	v_fma_f32 v35, 0xbeb58ec6, v91, -v123
	v_add_f32_e32 v21, v21, v130
	v_fmac_f32_e32 v106, 0xbf52af12, v86
	v_add_f32_e32 v20, v20, v29
	v_fma_f32 v29, 0x3f116cb1, v91, -v42
	v_add_f32_e32 v30, v35, v31
	v_fma_f32 v31, 0xbf788fa5, v92, -v127
	;; [unrolled: 6-line block ×3, first 2 shown]
	v_add_f32_e32 v21, v107, v21
	v_fmac_f32_e32 v108, 0xbf6f5d39, v85
	v_add_f32_e32 v20, v29, v20
	v_fma_f32 v29, 0xbeb58ec6, v93, -v32
	v_add_f32_e32 v133, v138, v133
	v_add_f32_e32 v30, v31, v30
	v_fma_f32 v31, 0x3df6dbef, v95, -v126
	v_add_f32_e32 v21, v108, v21
	v_fmac_f32_e32 v109, 0xbf29c268, v87
	v_add_f32_e32 v20, v29, v20
	v_fma_f32 v29, 0xbf3f9e67, v95, -v37
	v_mov_b32_e32 v32, 3
	v_add_f32_e32 v133, v136, v133
	v_fma_f32 v136, 0xbeb58ec6, v118, -v142
	v_add_f32_e32 v25, v46, v25
	v_add_f32_e32 v24, v45, v24
	v_fmac_f32_e32 v128, 0x3eedf032, v89
	v_add_f32_e32 v30, v31, v30
	v_fma_f32 v31, 0x3f62ad3f, v94, -v131
	v_add_f32_e32 v35, v109, v21
	v_fmac_f32_e32 v33, 0xbe750f2a, v89
	v_add_f32_e32 v36, v29, v20
	v_fma_f32 v34, 0xbf788fa5, v94, -v34
	v_lshlrev_b32_sdwa v32, v32, v78 dst_sel:DWORD dst_unused:UNUSED_PAD src0_sel:DWORD src1_sel:WORD_0
	v_add_f32_e32 v99, v136, v133
	v_add_f32_e32 v21, v128, v28
	;; [unrolled: 1-line block ×5, first 2 shown]
	ds_write2_b64 v32, v[24:25], v[22:23] offset1:1
	ds_write2_b64 v32, v[104:105], v[102:103] offset0:2 offset1:3
	ds_write2_b64 v32, v[100:101], v[98:99] offset0:4 offset1:5
	;; [unrolled: 1-line block ×5, first 2 shown]
	ds_write_b64 v32, v[28:29] offset:96
.LBB0_13:
	s_or_b32 exec_lo, exec_lo, s0
	s_waitcnt lgkmcnt(0)
	s_barrier
	buffer_gl0_inv
	ds_read2_b64 v[23:26], v79 offset0:104 offset1:156
	v_add_nc_u32_e32 v21, 0x800, v79
	v_add_nc_u32_e32 v20, 0x400, v79
	ds_read2_b64 v[27:30], v21 offset0:56 offset1:108
	ds_read2_b64 v[31:34], v21 offset0:160 offset1:212
	v_add_nc_u32_e32 v22, 0x1000, v79
	ds_read2_b64 v[35:38], v20 offset0:80 offset1:132
	ds_read2_b64 v[39:42], v22 offset0:8 offset1:60
	ds_read2_b64 v[67:70], v79 offset1:52
	s_waitcnt lgkmcnt(0)
	s_barrier
	buffer_gl0_inv
	v_mul_f32_e32 v43, v9, v26
	v_mul_f32_e32 v9, v9, v25
	v_fmac_f32_e32 v43, v8, v25
	v_fma_f32 v8, v8, v26, -v9
	v_mul_f32_e32 v9, v11, v28
	v_mul_f32_e32 v11, v11, v27
	;; [unrolled: 1-line block ×9, first 2 shown]
	v_fmac_f32_e32 v9, v10, v27
	v_fma_f32 v10, v10, v28, -v11
	v_fma_f32 v11, v51, v34, -v26
	v_fmac_f32_e32 v45, v4, v35
	v_fma_f32 v26, v4, v36, -v5
	v_fmac_f32_e32 v46, v6, v29
	;; [unrolled: 2-line block ×3, first 2 shown]
	v_mul_f32_e32 v27, v1, v38
	v_mul_f32_e32 v1, v1, v37
	;; [unrolled: 1-line block ×4, first 2 shown]
	v_sub_f32_e32 v7, v67, v9
	v_sub_f32_e32 v9, v68, v10
	v_sub_f32_e32 v6, v8, v11
	v_fmac_f32_e32 v25, v51, v33
	v_fma_f32 v29, v0, v38, -v1
	v_fmac_f32_e32 v28, v2, v31
	v_fma_f32 v30, v2, v32, -v3
	v_mul_f32_e32 v1, v48, v41
	v_fma_f32 v10, v68, 2.0, -v9
	v_fma_f32 v8, v8, 2.0, -v6
	v_sub_f32_e32 v31, v69, v46
	v_sub_f32_e32 v32, v45, v52
	v_mul_f32_e32 v5, v50, v39
	v_sub_f32_e32 v3, v43, v25
	v_mul_f32_e32 v25, v48, v42
	v_fma_f32 v11, v47, v42, -v1
	v_sub_f32_e32 v1, v10, v8
	v_fma_f32 v34, v69, 2.0, -v31
	v_fma_f32 v8, v45, 2.0, -v32
	v_fma_f32 v5, v49, v40, -v5
	v_fmac_f32_e32 v27, v0, v37
	v_fmac_f32_e32 v25, v47, v41
	v_sub_f32_e32 v33, v70, v4
	v_add_f32_e32 v4, v7, v6
	v_sub_f32_e32 v6, v34, v8
	v_sub_f32_e32 v35, v26, v5
	v_fma_f32 v0, v43, 2.0, -v3
	v_sub_f32_e32 v5, v9, v3
	v_fma_f32 v3, v10, 2.0, -v1
	v_fma_f32 v10, v34, 2.0, -v6
	v_sub_f32_e32 v34, v23, v28
	v_sub_f32_e32 v37, v24, v30
	;; [unrolled: 1-line block ×4, first 2 shown]
	v_fma_f32 v2, v67, 2.0, -v7
	v_fma_f32 v36, v70, 2.0, -v33
	v_fma_f32 v26, v26, 2.0, -v35
	v_add_f32_e32 v25, v31, v35
	v_fma_f32 v35, v23, 2.0, -v34
	v_fma_f32 v39, v24, 2.0, -v37
	v_fma_f32 v24, v27, 2.0, -v30
	v_fma_f32 v28, v29, 2.0, -v38
	v_sub_f32_e32 v0, v2, v0
	v_fma_f32 v8, v7, 2.0, -v4
	v_sub_f32_e32 v7, v36, v26
	v_sub_f32_e32 v26, v33, v32
	;; [unrolled: 1-line block ×4, first 2 shown]
	v_add_f32_e32 v29, v34, v38
	v_sub_f32_e32 v30, v37, v30
	v_fma_f32 v2, v2, 2.0, -v0
	v_fma_f32 v9, v9, 2.0, -v5
	;; [unrolled: 1-line block ×9, first 2 shown]
	ds_write2_b64 v83, v[2:3], v[8:9] offset1:13
	ds_write2_b64 v83, v[0:1], v[4:5] offset0:26 offset1:39
	ds_write2_b64 v82, v[10:11], v[23:24] offset1:13
	ds_write2_b64 v82, v[6:7], v[25:26] offset0:26 offset1:39
	;; [unrolled: 2-line block ×3, first 2 shown]
	s_waitcnt lgkmcnt(0)
	s_barrier
	buffer_gl0_inv
	ds_read2_b64 v[0:3], v79 offset0:104 offset1:156
	ds_read2_b64 v[4:7], v20 offset0:80 offset1:132
	;; [unrolled: 1-line block ×5, first 2 shown]
	ds_read2_b64 v[31:34], v79 offset1:52
	s_waitcnt lgkmcnt(0)
	s_barrier
	buffer_gl0_inv
	v_mul_f32_e32 v36, v17, v0
	v_mul_f32_e32 v35, v17, v1
	;; [unrolled: 1-line block ×3, first 2 shown]
	v_fma_f32 v1, v16, v1, -v36
	v_mul_f32_e32 v36, v13, v9
	v_fmac_f32_e32 v35, v16, v0
	v_mul_f32_e32 v0, v19, v4
	v_fmac_f32_e32 v37, v18, v4
	v_mul_f32_e32 v4, v13, v8
	v_fmac_f32_e32 v36, v12, v8
	v_mul_f32_e32 v8, v15, v23
	v_fma_f32 v0, v18, v5, -v0
	v_mul_f32_e32 v5, v15, v24
	v_fma_f32 v4, v12, v9, -v4
	;; [unrolled: 2-line block ×3, first 2 shown]
	v_mul_f32_e32 v24, v17, v3
	v_fmac_f32_e32 v5, v14, v23
	v_mul_f32_e32 v23, v54, v27
	v_fmac_f32_e32 v9, v53, v27
	v_mul_f32_e32 v17, v17, v2
	v_mul_f32_e32 v27, v19, v7
	v_fmac_f32_e32 v24, v16, v2
	v_mul_f32_e32 v2, v19, v6
	v_fma_f32 v23, v53, v28, -v23
	v_fma_f32 v16, v16, v3, -v17
	v_mul_f32_e32 v17, v13, v11
	v_fmac_f32_e32 v27, v18, v6
	v_mul_f32_e32 v3, v13, v10
	v_fma_f32 v13, v18, v7, -v2
	v_mul_f32_e32 v18, v15, v26
	v_mul_f32_e32 v2, v15, v25
	v_fmac_f32_e32 v17, v12, v10
	v_fma_f32 v12, v12, v11, -v3
	v_mul_f32_e32 v3, v54, v29
	v_fmac_f32_e32 v18, v14, v25
	v_fma_f32 v14, v14, v26, -v2
	v_add_f32_e32 v2, v37, v5
	v_add_f32_e32 v6, v31, v37
	v_fma_f32 v19, v53, v30, -v3
	v_add_f32_e32 v3, v0, v8
	v_mul_f32_e32 v15, v54, v30
	v_fma_f32 v7, -0.5, v2, v31
	v_sub_f32_e32 v2, v0, v8
	v_add_f32_e32 v0, v32, v0
	v_add_f32_e32 v6, v6, v5
	v_fma_f32 v11, -0.5, v3, v32
	v_sub_f32_e32 v3, v37, v5
	v_fmamk_f32 v10, v2, 0xbf5db3d7, v7
	v_fmac_f32_e32 v7, 0x3f5db3d7, v2
	v_add_f32_e32 v2, v4, v23
	v_add_f32_e32 v25, v0, v8
	;; [unrolled: 1-line block ×4, first 2 shown]
	v_fmamk_f32 v26, v3, 0x3f5db3d7, v11
	v_fmac_f32_e32 v1, -0.5, v2
	v_sub_f32_e32 v2, v36, v9
	v_add_f32_e32 v8, v35, v36
	v_fmac_f32_e32 v35, -0.5, v0
	v_sub_f32_e32 v0, v4, v23
	v_fmac_f32_e32 v11, 0xbf5db3d7, v3
	v_fmamk_f32 v3, v2, 0x3f5db3d7, v1
	v_fmac_f32_e32 v1, 0xbf5db3d7, v2
	v_add_f32_e32 v8, v8, v9
	v_fmamk_f32 v2, v0, 0xbf5db3d7, v35
	v_fmac_f32_e32 v35, 0x3f5db3d7, v0
	v_mul_f32_e32 v9, 0xbf5db3d7, v3
	v_mul_f32_e32 v28, 0xbf5db3d7, v1
	v_fmac_f32_e32 v15, v53, v29
	v_add_f32_e32 v23, v5, v23
	v_mul_f32_e32 v29, 0.5, v3
	v_fmac_f32_e32 v9, 0.5, v2
	v_fmac_f32_e32 v28, -0.5, v35
	v_mul_f32_e32 v30, -0.5, v1
	v_add_f32_e32 v0, v6, v8
	v_fmac_f32_e32 v29, 0x3f5db3d7, v2
	v_add_f32_e32 v2, v10, v9
	v_add_f32_e32 v4, v7, v28
	;; [unrolled: 1-line block ×3, first 2 shown]
	v_sub_f32_e32 v6, v6, v8
	v_sub_f32_e32 v8, v10, v9
	;; [unrolled: 1-line block ×4, first 2 shown]
	v_add_f32_e32 v23, v27, v18
	v_add_f32_e32 v3, v26, v29
	v_sub_f32_e32 v9, v26, v29
	v_add_f32_e32 v26, v13, v14
	v_add_f32_e32 v25, v33, v27
	v_fma_f32 v28, -0.5, v23, v33
	v_sub_f32_e32 v23, v13, v14
	v_add_f32_e32 v13, v34, v13
	v_fmac_f32_e32 v34, -0.5, v26
	v_add_f32_e32 v25, v25, v18
	v_sub_f32_e32 v18, v27, v18
	v_fmamk_f32 v26, v23, 0xbf5db3d7, v28
	v_fmac_f32_e32 v28, 0x3f5db3d7, v23
	v_add_f32_e32 v23, v12, v19
	v_add_f32_e32 v27, v13, v14
	;; [unrolled: 1-line block ×4, first 2 shown]
	v_sub_f32_e32 v12, v12, v19
	v_fmac_f32_e32 v16, -0.5, v23
	v_sub_f32_e32 v23, v17, v15
	v_add_f32_e32 v17, v24, v17
	v_fmac_f32_e32 v24, -0.5, v13
	v_fmac_f32_e32 v30, 0x3f5db3d7, v35
	v_fmamk_f32 v29, v18, 0x3f5db3d7, v34
	v_fmamk_f32 v13, v23, 0x3f5db3d7, v16
	v_fmac_f32_e32 v16, 0xbf5db3d7, v23
	v_fmac_f32_e32 v34, 0xbf5db3d7, v18
	v_add_f32_e32 v18, v17, v15
	v_fmamk_f32 v15, v12, 0xbf5db3d7, v24
	v_mul_f32_e32 v23, 0xbf5db3d7, v13
	v_mul_f32_e32 v31, 0.5, v13
	v_add_f32_e32 v5, v11, v30
	v_sub_f32_e32 v11, v11, v30
	v_fmac_f32_e32 v24, 0x3f5db3d7, v12
	v_mul_f32_e32 v30, 0xbf5db3d7, v16
	v_mul_f32_e32 v32, -0.5, v16
	v_add_f32_e32 v19, v14, v19
	v_fmac_f32_e32 v23, 0.5, v15
	v_fmac_f32_e32 v31, 0x3f5db3d7, v15
	v_fmac_f32_e32 v30, -0.5, v24
	v_fmac_f32_e32 v32, 0x3f5db3d7, v24
	v_add_f32_e32 v12, v25, v18
	v_add_f32_e32 v14, v26, v23
	;; [unrolled: 1-line block ×6, first 2 shown]
	v_sub_f32_e32 v18, v25, v18
	v_sub_f32_e32 v19, v27, v19
	v_sub_f32_e32 v23, v26, v23
	v_sub_f32_e32 v25, v28, v30
	v_sub_f32_e32 v24, v29, v31
	v_sub_f32_e32 v26, v34, v32
	ds_write2_b64 v79, v[0:1], v[2:3] offset1:52
	ds_write2_b64 v79, v[4:5], v[6:7] offset0:104 offset1:156
	ds_write2_b64 v20, v[8:9], v[10:11] offset0:80 offset1:132
	;; [unrolled: 1-line block ×5, first 2 shown]
	s_waitcnt lgkmcnt(0)
	s_barrier
	buffer_gl0_inv
	ds_read2_b64 v[0:3], v21 offset0:56 offset1:108
	ds_read2_b64 v[4:7], v21 offset0:160 offset1:212
	;; [unrolled: 1-line block ×3, first 2 shown]
	ds_read2_b64 v[12:15], v79 offset1:52
	ds_read2_b64 v[16:19], v79 offset0:104 offset1:156
	ds_read2_b64 v[23:26], v20 offset0:80 offset1:132
	s_waitcnt lgkmcnt(5)
	v_mul_f32_e32 v27, v58, v1
	v_mul_f32_e32 v28, v58, v0
	;; [unrolled: 1-line block ×4, first 2 shown]
	s_waitcnt lgkmcnt(4)
	v_mul_f32_e32 v31, v66, v7
	v_fmac_f32_e32 v27, v57, v0
	v_fma_f32 v1, v57, v1, -v28
	v_fmac_f32_e32 v29, v59, v2
	v_mul_f32_e32 v28, v56, v5
	v_mul_f32_e32 v0, v56, v4
	v_mul_f32_e32 v2, v66, v6
	v_fma_f32 v30, v59, v3, -v30
	s_waitcnt lgkmcnt(3)
	v_mul_f32_e32 v32, v62, v9
	v_fmac_f32_e32 v28, v55, v4
	v_fma_f32 v33, v55, v5, -v0
	v_fma_f32 v34, v65, v7, -v2
	v_mul_f32_e32 v2, v62, v8
	v_mul_f32_e32 v35, v64, v11
	v_mul_f32_e32 v3, v64, v10
	v_fmac_f32_e32 v31, v65, v6
	v_fmac_f32_e32 v32, v61, v8
	s_waitcnt lgkmcnt(2)
	v_sub_f32_e32 v0, v12, v27
	v_fma_f32 v27, v61, v9, -v2
	v_sub_f32_e32 v1, v13, v1
	v_fmac_f32_e32 v35, v63, v10
	v_fma_f32 v36, v63, v11, -v3
	s_waitcnt lgkmcnt(1)
	v_sub_f32_e32 v6, v16, v28
	v_sub_f32_e32 v7, v17, v33
	;; [unrolled: 1-line block ×6, first 2 shown]
	v_fma_f32 v2, v12, 2.0, -v0
	v_fma_f32 v3, v13, 2.0, -v1
	;; [unrolled: 1-line block ×4, first 2 shown]
	s_waitcnt lgkmcnt(0)
	v_sub_f32_e32 v16, v23, v32
	v_sub_f32_e32 v17, v24, v27
	;; [unrolled: 1-line block ×4, first 2 shown]
	v_fma_f32 v8, v14, 2.0, -v4
	v_fma_f32 v9, v15, 2.0, -v5
	;; [unrolled: 1-line block ×8, first 2 shown]
	ds_write2_b64 v79, v[2:3], v[8:9] offset1:52
	ds_write2_b64 v21, v[0:1], v[4:5] offset0:56 offset1:108
	ds_write2_b64 v79, v[12:13], v[14:15] offset0:104 offset1:156
	;; [unrolled: 1-line block ×5, first 2 shown]
	s_waitcnt lgkmcnt(0)
	s_barrier
	buffer_gl0_inv
	s_and_b32 exec_lo, exec_lo, vcc_lo
	s_cbranch_execz .LBB0_15
; %bb.14:
	v_lshlrev_b32_e32 v0, 3, v74
	v_add_co_u32 v2, s0, s14, v77
	v_add_co_ci_u32_e64 v3, null, s15, 0, s0
	s_clause 0x6
	global_load_dwordx2 v[24:25], v77, s[14:15]
	global_load_dwordx2 v[26:27], v77, s[14:15] offset:384
	global_load_dwordx2 v[28:29], v77, s[14:15] offset:768
	;; [unrolled: 1-line block ×5, first 2 shown]
	global_load_dwordx2 v[36:37], v0, s[14:15]
	v_add_co_u32 v0, vcc_lo, 0x800, v2
	v_add_co_ci_u32_e32 v1, vcc_lo, 0, v3, vcc_lo
	v_add_co_u32 v2, vcc_lo, 0x1000, v2
	v_add_co_ci_u32_e32 v3, vcc_lo, 0, v3, vcc_lo
	v_lshlrev_b32_e32 v4, 3, v73
	s_clause 0x5
	global_load_dwordx2 v[38:39], v[0:1], off offset:256
	global_load_dwordx2 v[40:41], v[0:1], off offset:640
	global_load_dwordx2 v[42:43], v[0:1], off offset:1408
	global_load_dwordx2 v[45:46], v[0:1], off offset:1792
	global_load_dwordx2 v[47:48], v[2:3], off offset:128
	global_load_dwordx2 v[49:50], v4, s[14:15]
	v_mad_u64_u32 v[8:9], null, s6, v44, 0
	v_mad_u64_u32 v[10:11], null, s4, v76, 0
	;; [unrolled: 1-line block ×4, first 2 shown]
	ds_read_b64 v[51:52], v79
	ds_read2_b64 v[0:3], v80 offset0:48 offset1:96
	v_mad_u64_u32 v[12:13], null, s7, v44, v[9:10]
	v_add_nc_u32_e32 v15, 0x400, v80
	v_add_nc_u32_e32 v16, 0x800, v80
	ds_read2_b64 v[4:7], v80 offset0:144 offset1:192
	v_add_nc_u32_e32 v20, 0x1000, v80
	v_mad_u64_u32 v[57:58], null, s4, v73, 0
	v_mad_u64_u32 v[13:14], null, s5, v76, v[11:12]
	v_mov_b32_e32 v9, v12
	v_mov_b32_e32 v12, v54
	s_mul_i32 s2, s5, 0x180
	s_mul_hi_u32 s3, s4, 0x180
	v_mov_b32_e32 v44, v58
	v_lshlrev_b64 v[8:9], 3, v[8:9]
	v_mov_b32_e32 v11, v13
	v_mov_b32_e32 v13, v56
	s_mul_i32 s6, s4, 0x180
	s_add_i32 s3, s3, s2
	s_mov_b32 s0, 0x1a41a41a
	v_lshlrev_b64 v[10:11], 3, v[10:11]
	v_add_co_u32 v76, vcc_lo, s12, v8
	v_add_co_ci_u32_e32 v77, vcc_lo, s13, v9, vcc_lo
	v_mad_u64_u32 v[67:68], null, s5, v75, v[12:13]
	v_add_co_u32 v59, vcc_lo, v76, v10
	v_add_co_ci_u32_e32 v60, vcc_lo, v77, v11, vcc_lo
	ds_read2_b64 v[8:11], v15 offset0:112 offset1:160
	v_mad_u64_u32 v[70:71], null, s5, v74, v[13:14]
	ds_read2_b64 v[12:15], v16 offset0:80 offset1:128
	ds_read2_b64 v[16:19], v16 offset0:176 offset1:224
	;; [unrolled: 1-line block ×3, first 2 shown]
	v_mov_b32_e32 v54, v67
	v_add_co_u32 v61, vcc_lo, v59, s6
	v_add_co_ci_u32_e32 v62, vcc_lo, s3, v60, vcc_lo
	s_mov_b32 s1, 0x3f5a41a4
	v_add_co_u32 v63, vcc_lo, v61, s6
	v_add_co_ci_u32_e32 v64, vcc_lo, s3, v62, vcc_lo
	s_mul_i32 s7, s5, 0x300
	v_add_co_u32 v65, vcc_lo, v63, s6
	v_add_co_ci_u32_e32 v66, vcc_lo, s3, v64, vcc_lo
	v_mov_b32_e32 v56, v70
	v_lshlrev_b64 v[53:54], 3, v[53:54]
	v_mad_u64_u32 v[68:69], null, 0x300, s4, v[65:66]
	v_lshlrev_b64 v[55:56], 3, v[55:56]
	v_add_nc_u32_e32 v69, s7, v69
	s_waitcnt vmcnt(11) lgkmcnt(5)
	v_mul_f32_e32 v67, v1, v27
	v_mul_f32_e32 v27, v0, v27
	s_waitcnt vmcnt(10)
	v_mul_f32_e32 v78, v3, v29
	v_mul_f32_e32 v29, v2, v29
	s_waitcnt vmcnt(9) lgkmcnt(4)
	v_mul_f32_e32 v79, v5, v31
	v_mul_f32_e32 v31, v4, v31
	v_fmac_f32_e32 v67, v0, v26
	s_waitcnt vmcnt(8)
	v_mul_f32_e32 v80, v7, v33
	v_mul_f32_e32 v33, v6, v33
	s_waitcnt vmcnt(6) lgkmcnt(2)
	v_mul_f32_e32 v82, v15, v37
	v_mul_f32_e32 v37, v14, v37
	;; [unrolled: 1-line block ×4, first 2 shown]
	v_fmac_f32_e32 v78, v2, v28
	v_fmac_f32_e32 v79, v4, v30
	s_waitcnt vmcnt(2)
	v_mad_u64_u32 v[71:72], null, s5, v73, v[44:45]
	v_mul_f32_e32 v44, v52, v25
	v_mul_f32_e32 v25, v51, v25
	v_fmac_f32_e32 v80, v6, v32
	v_fma_f32 v32, v32, v7, -v33
	v_fmac_f32_e32 v82, v14, v36
	v_fmac_f32_e32 v44, v51, v24
	v_fma_f32 v24, v24, v52, -v25
	v_fma_f32 v25, v26, v1, -v27
	;; [unrolled: 1-line block ×4, first 2 shown]
	v_cvt_f64_f32_e32 v[0:1], v44
	v_mul_f32_e32 v44, v11, v39
	v_mul_f32_e32 v39, v10, v39
	v_cvt_f64_f32_e32 v[4:5], v67
	v_mul_f32_e32 v67, v13, v41
	v_mul_f32_e32 v41, v12, v41
	v_fma_f32 v14, v36, v15, -v37
	s_waitcnt lgkmcnt(1)
	v_mul_f32_e32 v36, v17, v43
	v_mul_f32_e32 v15, v16, v43
	v_fmac_f32_e32 v81, v8, v34
	v_fma_f32 v51, v34, v9, -v35
	v_cvt_f64_f32_e32 v[2:3], v24
	v_mul_f32_e32 v43, v19, v46
	v_mul_f32_e32 v37, v18, v46
	v_cvt_f64_f32_e32 v[6:7], v25
	s_waitcnt vmcnt(1) lgkmcnt(0)
	v_mul_f32_e32 v46, v21, v48
	v_mul_f32_e32 v48, v20, v48
	v_fmac_f32_e32 v44, v10, v38
	v_fma_f32 v38, v38, v11, -v39
	v_cvt_f64_f32_e32 v[8:9], v78
	v_cvt_f64_f32_e32 v[24:25], v26
	s_waitcnt vmcnt(0)
	v_mul_f32_e32 v78, v23, v50
	v_mul_f32_e32 v50, v22, v50
	v_fmac_f32_e32 v67, v12, v40
	v_fma_f32 v39, v40, v13, -v41
	v_cvt_f64_f32_e32 v[26:27], v79
	v_cvt_f64_f32_e32 v[28:29], v28
	;; [unrolled: 1-line block ×4, first 2 shown]
	v_fmac_f32_e32 v36, v16, v42
	v_fma_f32 v40, v42, v17, -v15
	v_cvt_f64_f32_e32 v[34:35], v81
	v_cvt_f64_f32_e32 v[51:52], v51
	v_fmac_f32_e32 v43, v18, v45
	v_fma_f32 v41, v45, v19, -v37
	v_cvt_f64_f32_e32 v[10:11], v82
	v_cvt_f64_f32_e32 v[12:13], v14
	;; [unrolled: 4-line block ×4, first 2 shown]
	v_cvt_f64_f32_e32 v[22:23], v36
	v_cvt_f64_f32_e32 v[36:37], v40
	;; [unrolled: 1-line block ×8, first 2 shown]
	v_mul_f64 v[0:1], v[0:1], s[0:1]
	v_mul_f64 v[2:3], v[2:3], s[0:1]
	;; [unrolled: 1-line block ×26, first 2 shown]
	v_add_co_u32 v72, vcc_lo, v68, s6
	v_add_co_ci_u32_e32 v73, vcc_lo, s3, v69, vcc_lo
	v_mov_b32_e32 v58, v71
	v_add_co_u32 v70, vcc_lo, v72, s6
	v_add_co_ci_u32_e32 v71, vcc_lo, s3, v73, vcc_lo
	v_cvt_f32_f64_e32 v0, v[0:1]
	v_cvt_f32_f64_e32 v1, v[2:3]
	;; [unrolled: 1-line block ×6, first 2 shown]
	v_mad_u64_u32 v[74:75], null, 0x300, s4, v[70:71]
	v_cvt_f32_f64_e32 v6, v[26:27]
	v_cvt_f32_f64_e32 v7, v[28:29]
	;; [unrolled: 1-line block ×12, first 2 shown]
	v_add_co_u32 v53, vcc_lo, v76, v53
	v_cvt_f32_f64_e32 v16, v[22:23]
	v_cvt_f32_f64_e32 v17, v[36:37]
	v_add_co_ci_u32_e32 v54, vcc_lo, v77, v54, vcc_lo
	v_cvt_f32_f64_e32 v18, v[38:39]
	v_cvt_f32_f64_e32 v19, v[40:41]
	v_lshlrev_b64 v[57:58], 3, v[57:58]
	v_add_co_u32 v55, vcc_lo, v76, v55
	v_add_nc_u32_e32 v75, s7, v75
	v_cvt_f32_f64_e32 v20, v[42:43]
	v_cvt_f32_f64_e32 v21, v[44:45]
	v_cvt_f32_f64_e32 v22, v[46:47]
	v_cvt_f32_f64_e32 v23, v[48:49]
	v_add_co_ci_u32_e32 v56, vcc_lo, v77, v56, vcc_lo
	v_add_co_u32 v26, vcc_lo, v74, s6
	v_add_co_ci_u32_e32 v27, vcc_lo, s3, v75, vcc_lo
	v_add_co_u32 v28, vcc_lo, v76, v57
	v_add_co_ci_u32_e32 v29, vcc_lo, v77, v58, vcc_lo
	v_add_co_u32 v30, vcc_lo, v26, s6
	v_add_co_ci_u32_e32 v31, vcc_lo, s3, v27, vcc_lo
	global_store_dwordx2 v[59:60], v[0:1], off
	global_store_dwordx2 v[61:62], v[2:3], off
	;; [unrolled: 1-line block ×13, first 2 shown]
.LBB0_15:
	s_endpgm
	.section	.rodata,"a",@progbits
	.p2align	6, 0x0
	.amdhsa_kernel bluestein_single_fwd_len624_dim1_sp_op_CI_CI
		.amdhsa_group_segment_fixed_size 4992
		.amdhsa_private_segment_fixed_size 0
		.amdhsa_kernarg_size 104
		.amdhsa_user_sgpr_count 6
		.amdhsa_user_sgpr_private_segment_buffer 1
		.amdhsa_user_sgpr_dispatch_ptr 0
		.amdhsa_user_sgpr_queue_ptr 0
		.amdhsa_user_sgpr_kernarg_segment_ptr 1
		.amdhsa_user_sgpr_dispatch_id 0
		.amdhsa_user_sgpr_flat_scratch_init 0
		.amdhsa_user_sgpr_private_segment_size 0
		.amdhsa_wavefront_size32 1
		.amdhsa_uses_dynamic_stack 0
		.amdhsa_system_sgpr_private_segment_wavefront_offset 0
		.amdhsa_system_sgpr_workgroup_id_x 1
		.amdhsa_system_sgpr_workgroup_id_y 0
		.amdhsa_system_sgpr_workgroup_id_z 0
		.amdhsa_system_sgpr_workgroup_info 0
		.amdhsa_system_vgpr_workitem_id 0
		.amdhsa_next_free_vgpr 159
		.amdhsa_next_free_sgpr 16
		.amdhsa_reserve_vcc 1
		.amdhsa_reserve_flat_scratch 0
		.amdhsa_float_round_mode_32 0
		.amdhsa_float_round_mode_16_64 0
		.amdhsa_float_denorm_mode_32 3
		.amdhsa_float_denorm_mode_16_64 3
		.amdhsa_dx10_clamp 1
		.amdhsa_ieee_mode 1
		.amdhsa_fp16_overflow 0
		.amdhsa_workgroup_processor_mode 1
		.amdhsa_memory_ordered 1
		.amdhsa_forward_progress 0
		.amdhsa_shared_vgpr_count 0
		.amdhsa_exception_fp_ieee_invalid_op 0
		.amdhsa_exception_fp_denorm_src 0
		.amdhsa_exception_fp_ieee_div_zero 0
		.amdhsa_exception_fp_ieee_overflow 0
		.amdhsa_exception_fp_ieee_underflow 0
		.amdhsa_exception_fp_ieee_inexact 0
		.amdhsa_exception_int_div_zero 0
	.end_amdhsa_kernel
	.text
.Lfunc_end0:
	.size	bluestein_single_fwd_len624_dim1_sp_op_CI_CI, .Lfunc_end0-bluestein_single_fwd_len624_dim1_sp_op_CI_CI
                                        ; -- End function
	.section	.AMDGPU.csdata,"",@progbits
; Kernel info:
; codeLenInByte = 13416
; NumSgprs: 18
; NumVgprs: 159
; ScratchSize: 0
; MemoryBound: 0
; FloatMode: 240
; IeeeMode: 1
; LDSByteSize: 4992 bytes/workgroup (compile time only)
; SGPRBlocks: 2
; VGPRBlocks: 19
; NumSGPRsForWavesPerEU: 18
; NumVGPRsForWavesPerEU: 159
; Occupancy: 6
; WaveLimiterHint : 1
; COMPUTE_PGM_RSRC2:SCRATCH_EN: 0
; COMPUTE_PGM_RSRC2:USER_SGPR: 6
; COMPUTE_PGM_RSRC2:TRAP_HANDLER: 0
; COMPUTE_PGM_RSRC2:TGID_X_EN: 1
; COMPUTE_PGM_RSRC2:TGID_Y_EN: 0
; COMPUTE_PGM_RSRC2:TGID_Z_EN: 0
; COMPUTE_PGM_RSRC2:TIDIG_COMP_CNT: 0
	.text
	.p2alignl 6, 3214868480
	.fill 48, 4, 3214868480
	.type	__hip_cuid_45d011818ab80f49,@object ; @__hip_cuid_45d011818ab80f49
	.section	.bss,"aw",@nobits
	.globl	__hip_cuid_45d011818ab80f49
__hip_cuid_45d011818ab80f49:
	.byte	0                               ; 0x0
	.size	__hip_cuid_45d011818ab80f49, 1

	.ident	"AMD clang version 19.0.0git (https://github.com/RadeonOpenCompute/llvm-project roc-6.4.0 25133 c7fe45cf4b819c5991fe208aaa96edf142730f1d)"
	.section	".note.GNU-stack","",@progbits
	.addrsig
	.addrsig_sym __hip_cuid_45d011818ab80f49
	.amdgpu_metadata
---
amdhsa.kernels:
  - .args:
      - .actual_access:  read_only
        .address_space:  global
        .offset:         0
        .size:           8
        .value_kind:     global_buffer
      - .actual_access:  read_only
        .address_space:  global
        .offset:         8
        .size:           8
        .value_kind:     global_buffer
      - .actual_access:  read_only
        .address_space:  global
        .offset:         16
        .size:           8
        .value_kind:     global_buffer
      - .actual_access:  read_only
        .address_space:  global
        .offset:         24
        .size:           8
        .value_kind:     global_buffer
      - .actual_access:  read_only
        .address_space:  global
        .offset:         32
        .size:           8
        .value_kind:     global_buffer
      - .offset:         40
        .size:           8
        .value_kind:     by_value
      - .address_space:  global
        .offset:         48
        .size:           8
        .value_kind:     global_buffer
      - .address_space:  global
        .offset:         56
        .size:           8
        .value_kind:     global_buffer
      - .address_space:  global
        .offset:         64
        .size:           8
        .value_kind:     global_buffer
      - .address_space:  global
        .offset:         72
        .size:           8
        .value_kind:     global_buffer
      - .offset:         80
        .size:           4
        .value_kind:     by_value
      - .address_space:  global
        .offset:         88
        .size:           8
        .value_kind:     global_buffer
      - .address_space:  global
        .offset:         96
        .size:           8
        .value_kind:     global_buffer
    .group_segment_fixed_size: 4992
    .kernarg_segment_align: 8
    .kernarg_segment_size: 104
    .language:       OpenCL C
    .language_version:
      - 2
      - 0
    .max_flat_workgroup_size: 52
    .name:           bluestein_single_fwd_len624_dim1_sp_op_CI_CI
    .private_segment_fixed_size: 0
    .sgpr_count:     18
    .sgpr_spill_count: 0
    .symbol:         bluestein_single_fwd_len624_dim1_sp_op_CI_CI.kd
    .uniform_work_group_size: 1
    .uses_dynamic_stack: false
    .vgpr_count:     159
    .vgpr_spill_count: 0
    .wavefront_size: 32
    .workgroup_processor_mode: 1
amdhsa.target:   amdgcn-amd-amdhsa--gfx1030
amdhsa.version:
  - 1
  - 2
...

	.end_amdgpu_metadata
